;; amdgpu-corpus repo=ROCm/rocFFT kind=compiled arch=gfx906 opt=O3
	.text
	.amdgcn_target "amdgcn-amd-amdhsa--gfx906"
	.amdhsa_code_object_version 6
	.protected	bluestein_single_fwd_len2880_dim1_dp_op_CI_CI ; -- Begin function bluestein_single_fwd_len2880_dim1_dp_op_CI_CI
	.globl	bluestein_single_fwd_len2880_dim1_dp_op_CI_CI
	.p2align	8
	.type	bluestein_single_fwd_len2880_dim1_dp_op_CI_CI,@function
bluestein_single_fwd_len2880_dim1_dp_op_CI_CI: ; @bluestein_single_fwd_len2880_dim1_dp_op_CI_CI
; %bb.0:
	s_load_dwordx4 s[16:19], s[4:5], 0x28
	s_mov_b64 s[50:51], s[2:3]
	v_mul_u32_u24_e32 v1, 0x2ab, v0
	s_mov_b64 s[48:49], s[0:1]
	v_add_u32_sdwa v2, s6, v1 dst_sel:DWORD dst_unused:UNUSED_PAD src0_sel:DWORD src1_sel:WORD_1
	v_mov_b32_e32 v3, 0
	s_add_u32 s48, s48, s7
	s_waitcnt lgkmcnt(0)
	v_cmp_gt_u64_e32 vcc, s[16:17], v[2:3]
	s_addc_u32 s49, s49, 0
	s_and_saveexec_b64 s[0:1], vcc
	s_cbranch_execz .LBB0_2
; %bb.1:
	s_load_dwordx4 s[8:11], s[4:5], 0x18
	v_mov_b32_e32 v4, v2
	s_movk_i32 s6, 0x60
	v_mul_lo_u16_sdwa v1, v1, s6 dst_sel:DWORD dst_unused:UNUSED_PAD src0_sel:WORD_1 src1_sel:DWORD
	v_sub_u16_e32 v170, v0, v1
	s_waitcnt lgkmcnt(0)
	s_load_dwordx4 s[12:15], s[8:9], 0x0
	buffer_store_dword v4, off, s[48:51], 0 offset:28 ; 4-byte Folded Spill
	s_nop 0
	buffer_store_dword v5, off, s[48:51], 0 offset:32 ; 4-byte Folded Spill
	v_lshlrev_b32_e32 v20, 4, v170
	s_movk_i32 s33, 0x1000
	s_movk_i32 s34, 0x2000
	s_waitcnt lgkmcnt(0)
	v_mad_u64_u32 v[0:1], s[0:1], s14, v2, 0
	v_mad_u64_u32 v[2:3], s[0:1], s12, v170, 0
	s_load_dwordx4 s[0:3], s[4:5], 0x0
	s_mul_i32 s7, s13, 0x1200
	v_or_b32_e32 v173, 0x480, v170
	s_movk_i32 s35, 0x3000
	s_movk_i32 s36, 0x5000
	s_waitcnt lgkmcnt(0)
	s_add_u32 s24, s0, 0xb400
	s_addc_u32 s25, s1, 0
	global_load_dwordx4 v[78:81], v20, s[0:1]
	v_or_b32_e32 v43, 0x900, v170
	s_movk_i32 s39, 0x6000
	v_mad_u64_u32 v[40:41], s[16:17], s12, v43, 0
	s_movk_i32 s41, 0x7000
	v_or_b32_e32 v172, 0x180, v170
	v_mad_u64_u32 v[52:53], s[16:17], s12, v172, 0
	v_mov_b32_e32 v48, 0xffff6400
	s_mov_b32 s42, 0xa000
	v_lshlrev_b32_e32 v58, 4, v172
	s_movk_i32 s37, 0x4000
	s_mov_b32 s38, 0x8000
	s_mov_b32 s40, 0x9000
	v_or_b32_e32 v171, 0x300, v170
	s_mov_b32 s20, 0x372fe950
	s_mov_b32 s21, 0x3fd3c6ef
	;; [unrolled: 1-line block ×9, first 2 shown]
	s_movk_i32 s43, 0x50
	v_mad_u64_u32 v[4:5], s[8:9], s15, v4, v[1:2]
	v_mad_u64_u32 v[24:25], s[14:15], s12, v173, 0
	;; [unrolled: 1-line block ×3, first 2 shown]
	v_mov_b32_e32 v1, v4
	v_lshlrev_b64 v[0:1], 4, v[0:1]
	v_mov_b32_e32 v3, v5
	v_add_co_u32_e32 v22, vcc, s18, v0
	v_mov_b32_e32 v0, s19
	v_addc_co_u32_e32 v23, vcc, v0, v1, vcc
	v_lshlrev_b64 v[0:1], 4, v[2:3]
	v_mov_b32_e32 v2, s1
	v_add_co_u32_e32 v0, vcc, v22, v0
	v_addc_co_u32_e32 v1, vcc, v23, v1, vcc
	v_add_co_u32_e32 v56, vcc, s0, v20
	s_mul_hi_u32 s8, s12, 0x1200
	v_addc_co_u32_e32 v57, vcc, 0, v2, vcc
	s_add_i32 s7, s8, s7
	s_mul_i32 s8, s12, 0x1200
	global_load_dwordx4 v[4:7], v[0:1], off
	v_add_co_u32_e32 v0, vcc, s8, v0
	v_mov_b32_e32 v2, s7
	v_addc_co_u32_e32 v1, vcc, v1, v2, vcc
	v_add_co_u32_e32 v64, vcc, s33, v56
	v_addc_co_u32_e32 v65, vcc, 0, v57, vcc
	global_load_dwordx4 v[8:11], v[0:1], off
	v_add_co_u32_e32 v0, vcc, s8, v0
	v_addc_co_u32_e32 v1, vcc, v1, v2, vcc
	global_load_dwordx4 v[12:15], v[0:1], off
	v_add_co_u32_e32 v2, vcc, s34, v56
	v_addc_co_u32_e32 v3, vcc, 0, v57, vcc
	v_add_co_u32_e32 v0, vcc, s8, v0
	v_mov_b32_e32 v16, s7
	v_addc_co_u32_e32 v1, vcc, v1, v16, vcc
	global_load_dwordx4 v[106:109], v[64:65], off offset:512
	v_add_co_u32_e32 v62, vcc, s35, v56
	global_load_dwordx4 v[110:113], v[2:3], off offset:1024
	v_mov_b32_e32 v21, v25
	v_addc_co_u32_e32 v63, vcc, 0, v57, vcc
	global_load_dwordx4 v[118:121], v[62:63], off offset:1536
	v_mad_u64_u32 v[25:26], s[14:15], s13, v173, v[21:22]
	v_lshlrev_b32_e32 v21, 4, v173
	global_load_dwordx4 v[114:117], v21, s[0:1]
	v_lshlrev_b64 v[24:25], 4, v[24:25]
	s_mul_i32 s9, s13, 0x2400
	v_add_co_u32_e32 v24, vcc, v22, v24
	s_mul_hi_u32 s14, s12, 0x2400
	v_addc_co_u32_e32 v25, vcc, v23, v25, vcc
	s_add_i32 s9, s14, s9
	s_mul_i32 s14, s12, 0x2400
	global_load_dwordx4 v[16:19], v[0:1], off
	v_add_co_u32_e32 v0, vcc, s14, v0
	buffer_store_dword v21, off, s[48:51], 0 offset:528 ; 4-byte Folded Spill
	v_mov_b32_e32 v21, s9
	v_addc_co_u32_e32 v1, vcc, v1, v21, vcc
	v_add_co_u32_e32 v70, vcc, s36, v56
	v_addc_co_u32_e32 v71, vcc, 0, v57, vcc
	global_load_dwordx4 v[28:31], v[0:1], off
	v_add_co_u32_e32 v0, vcc, s8, v0
	v_mov_b32_e32 v21, s7
	v_addc_co_u32_e32 v1, vcc, v1, v21, vcc
	global_load_dwordx4 v[32:35], v[0:1], off
	v_add_co_u32_e32 v68, vcc, s39, v56
	v_addc_co_u32_e32 v69, vcc, 0, v57, vcc
	v_add_co_u32_e32 v0, vcc, s8, v0
	v_addc_co_u32_e32 v1, vcc, v1, v21, vcc
	v_mov_b32_e32 v21, v41
	v_mad_u64_u32 v[41:42], s[16:17], s13, v43, v[21:22]
	v_add_co_u32_e32 v74, vcc, s41, v56
	v_lshlrev_b64 v[40:41], 4, v[40:41]
	v_addc_co_u32_e32 v75, vcc, 0, v57, vcc
	v_add_co_u32_e32 v40, vcc, v22, v40
	v_addc_co_u32_e32 v41, vcc, v23, v41, vcc
	global_load_dwordx4 v[36:39], v[0:1], off
	v_add_co_u32_e32 v0, vcc, s14, v0
	v_mov_b32_e32 v44, s9
	v_addc_co_u32_e32 v1, vcc, v1, v44, vcc
	global_load_dwordx4 v[44:47], v[0:1], off
	v_mad_u64_u32 v[0:1], s[16:17], s12, v48, v[0:1]
	v_mov_b32_e32 v48, v53
	v_mad_u64_u32 v[53:54], s[16:17], s13, v172, v[48:49]
	v_add_co_u32_e32 v66, vcc, s42, v56
	v_lshlrev_b64 v[52:53], 4, v[52:53]
	v_addc_co_u32_e32 v67, vcc, 0, v57, vcc
	s_mul_i32 s15, s13, 0xffff6400
	v_mov_b32_e32 v21, v43
	s_sub_i32 s15, s15, s12
	v_add_co_u32_e32 v52, vcc, v22, v52
	buffer_store_dword v21, off, s[48:51], 0 offset:100 ; 4-byte Folded Spill
	v_lshlrev_b32_e32 v21, 4, v21
	v_add_u32_e32 v1, s15, v1
	v_addc_co_u32_e32 v53, vcc, v23, v53, vcc
	global_load_dwordx4 v[24:27], v[24:25], off
	s_mul_i32 s15, s13, 0xffff7600
	global_load_dwordx4 v[122:125], v[70:71], off offset:2560
	global_load_dwordx4 v[126:129], v[68:69], off offset:3072
	;; [unrolled: 1-line block ×3, first 2 shown]
	global_load_dwordx4 v[130:133], v21, s[0:1]
	global_load_dwordx4 v[90:93], v[66:67], off offset:512
	s_sub_i32 s15, s15, s12
	global_load_dwordx4 v[40:43], v[40:41], off
	s_nop 0
	global_load_dwordx4 v[48:51], v[0:1], off
	global_load_dwordx4 v[98:101], v20, s[0:1] offset:1536
	global_load_dwordx4 v[94:97], v58, s[0:1]
	v_add_co_u32_e32 v0, vcc, s14, v0
	buffer_store_dword v58, off, s[48:51], 0 offset:516 ; 4-byte Folded Spill
	v_mov_b32_e32 v58, s9
	v_addc_co_u32_e32 v1, vcc, v1, v58, vcc
	global_load_dwordx4 v[52:55], v[52:53], off
	s_nop 0
	global_load_dwordx4 v[58:61], v[0:1], off
	global_load_dwordx4 v[102:105], v[2:3], off offset:2560
	v_add_co_u32_e32 v76, vcc, s8, v0
	v_mov_b32_e32 v0, s7
	v_addc_co_u32_e32 v77, vcc, v1, v0, vcc
	global_load_dwordx4 v[0:3], v[76:77], off
	global_load_dwordx4 v[148:151], v[62:63], off offset:3072
	s_waitcnt vmcnt(30)
	buffer_store_dword v78, off, s[48:51], 0 offset:376 ; 4-byte Folded Spill
	s_nop 0
	buffer_store_dword v79, off, s[48:51], 0 offset:380 ; 4-byte Folded Spill
	buffer_store_dword v80, off, s[48:51], 0 offset:384 ; 4-byte Folded Spill
	buffer_store_dword v81, off, s[48:51], 0 offset:388 ; 4-byte Folded Spill
	s_waitcnt vmcnt(30)
	buffer_store_dword v106, off, s[48:51], 0 offset:360 ; 4-byte Folded Spill
	s_nop 0
	buffer_store_dword v107, off, s[48:51], 0 offset:364 ; 4-byte Folded Spill
	buffer_store_dword v108, off, s[48:51], 0 offset:368 ; 4-byte Folded Spill
	buffer_store_dword v109, off, s[48:51], 0 offset:372 ; 4-byte Folded Spill
	;; [unrolled: 6-line block ×5, first 2 shown]
	s_mov_b32 s19, 0xbfee6f0e
	v_mul_f64 v[62:63], v[6:7], v[80:81]
	v_mul_f64 v[72:73], v[4:5], v[80:81]
	;; [unrolled: 1-line block ×3, first 2 shown]
	s_waitcnt vmcnt(42)
	v_mul_f64 v[82:83], v[18:19], v[120:121]
	v_mul_f64 v[84:85], v[16:17], v[120:121]
	s_waitcnt vmcnt(35)
	v_mul_f64 v[86:87], v[26:27], v[116:117]
	v_mul_f64 v[88:89], v[24:25], v[116:117]
	v_fma_f64 v[4:5], v[4:5], v[78:79], v[62:63]
	v_fma_f64 v[6:7], v[6:7], v[78:79], -v[72:73]
	v_mul_f64 v[62:63], v[10:11], v[108:109]
	v_mul_f64 v[72:73], v[8:9], v[108:109]
	;; [unrolled: 1-line block ×3, first 2 shown]
	v_fma_f64 v[14:15], v[14:15], v[110:111], -v[80:81]
	v_fma_f64 v[16:17], v[16:17], v[118:119], v[82:83]
	v_fma_f64 v[18:19], v[18:19], v[118:119], -v[84:85]
	v_fma_f64 v[24:25], v[24:25], v[114:115], v[86:87]
	v_fma_f64 v[26:27], v[26:27], v[114:115], -v[88:89]
	v_fma_f64 v[8:9], v[8:9], v[106:107], v[62:63]
	v_fma_f64 v[10:11], v[10:11], v[106:107], -v[72:73]
	v_fma_f64 v[12:13], v[12:13], v[110:111], v[78:79]
	ds_write_b128 v20, v[4:7]
	ds_write_b128 v20, v[8:11] offset:4608
	ds_write_b128 v20, v[12:15] offset:9216
	;; [unrolled: 1-line block ×4, first 2 shown]
	s_waitcnt vmcnt(34)
	buffer_store_dword v122, off, s[48:51], 0 offset:296 ; 4-byte Folded Spill
	s_nop 0
	buffer_store_dword v123, off, s[48:51], 0 offset:300 ; 4-byte Folded Spill
	buffer_store_dword v124, off, s[48:51], 0 offset:304 ; 4-byte Folded Spill
	buffer_store_dword v125, off, s[48:51], 0 offset:308 ; 4-byte Folded Spill
	s_waitcnt vmcnt(37)
	buffer_store_dword v126, off, s[48:51], 0 offset:280 ; 4-byte Folded Spill
	s_nop 0
	buffer_store_dword v127, off, s[48:51], 0 offset:284 ; 4-byte Folded Spill
	buffer_store_dword v128, off, s[48:51], 0 offset:288 ; 4-byte Folded Spill
	buffer_store_dword v129, off, s[48:51], 0 offset:292 ; 4-byte Folded Spill
	;; [unrolled: 6-line block ×8, first 2 shown]
	v_or_b32_e32 v82, 0xa80, v170
	v_mad_u64_u32 v[86:87], s[16:17], s12, v171, 0
	v_mov_b32_e32 v84, s7
	s_waitcnt vmcnt(52)
	v_mul_f64 v[72:73], v[2:3], v[150:151]
	v_mul_f64 v[6:7], v[28:29], v[124:125]
	;; [unrolled: 1-line block ×9, first 2 shown]
	v_fma_f64 v[14:15], v[30:31], v[122:123], -v[6:7]
	v_fma_f64 v[6:7], v[34:35], v[126:127], -v[10:11]
	;; [unrolled: 1-line block ×4, first 2 shown]
	v_mul_f64 v[26:27], v[44:45], v[92:93]
	v_fma_f64 v[12:13], v[28:29], v[122:123], v[4:5]
	v_fma_f64 v[4:5], v[32:33], v[126:127], v[8:9]
	;; [unrolled: 1-line block ×4, first 2 shown]
	v_mul_f64 v[24:25], v[46:47], v[92:93]
	v_mul_f64 v[28:29], v[50:51], v[100:101]
	;; [unrolled: 1-line block ×4, first 2 shown]
	v_fma_f64 v[80:81], v[46:47], v[90:91], -v[26:27]
	v_or_b32_e32 v46, 0x600, v170
	v_mul_f64 v[30:31], v[48:49], v[100:101]
	v_mul_f64 v[34:35], v[52:53], v[96:97]
	v_mad_u64_u32 v[40:41], s[16:17], s12, v46, 0
	v_mul_f64 v[38:39], v[58:59], v[104:105]
	v_fma_f64 v[78:79], v[44:45], v[90:91], v[24:25]
	v_mad_u64_u32 v[41:42], s[16:17], s13, v46, v[41:42]
	v_fma_f64 v[24:25], v[48:49], v[98:99], v[28:29]
	v_fma_f64 v[28:29], v[52:53], v[94:95], v[32:33]
	v_fma_f64 v[32:33], v[58:59], v[102:103], v[36:37]
	v_add_co_u32_e32 v44, vcc, s8, v76
	v_mov_b32_e32 v36, s7
	v_addc_co_u32_e32 v45, vcc, v77, v36, vcc
	v_fma_f64 v[26:27], v[50:51], v[98:99], -v[30:31]
	v_fma_f64 v[30:31], v[54:55], v[94:95], -v[34:35]
	v_add_co_u32_e32 v94, vcc, s37, v56
	v_lshlrev_b64 v[40:41], 4, v[40:41]
	v_addc_co_u32_e32 v95, vcc, 0, v57, vcc
	v_add_co_u32_e32 v40, vcc, v22, v40
	v_addc_co_u32_e32 v41, vcc, v23, v41, vcc
	v_fma_f64 v[34:35], v[60:61], v[102:103], -v[38:39]
	global_load_dwordx4 v[36:39], v[44:45], off
	v_add_co_u32_e32 v48, vcc, s14, v44
	v_mov_b32_e32 v44, s9
	buffer_store_dword v46, off, s[48:51], 0 offset:24 ; 4-byte Folded Spill
	v_lshlrev_b32_e32 v123, 4, v46
	v_addc_co_u32_e32 v49, vcc, v45, v44, vcc
	global_load_dwordx4 v[178:181], v[94:95], off offset:3584
	global_load_dwordx4 v[164:167], v123, s[0:1]
	v_add_co_u32_e32 v52, vcc, s8, v48
	global_load_dwordx4 v[40:43], v[40:41], off
	s_nop 0
	global_load_dwordx4 v[44:47], v[48:49], off
	global_load_dwordx4 v[160:163], v[74:75], off offset:512
	v_mov_b32_e32 v48, s7
	v_addc_co_u32_e32 v53, vcc, v49, v48, vcc
	v_add_co_u32_e32 v74, vcc, s38, v56
	v_mad_u64_u32 v[58:59], s[16:17], s12, v82, 0
	v_addc_co_u32_e32 v75, vcc, 0, v57, vcc
	global_load_dwordx4 v[48:51], v[52:53], off
	v_add_co_u32_e32 v60, vcc, s8, v52
	v_mov_b32_e32 v52, s7
	v_addc_co_u32_e32 v61, vcc, v53, v52, vcc
	v_add_co_u32_e32 v76, vcc, s40, v56
	v_mov_b32_e32 v56, v59
	v_mad_u64_u32 v[62:63], s[16:17], s13, v82, v[56:57]
	buffer_store_dword v82, off, s[48:51], 0 offset:20 ; 4-byte Folded Spill
	v_lshlrev_b32_e32 v122, 4, v82
	v_mov_b32_e32 v59, v62
	v_mov_b32_e32 v62, 0xffff7600
	v_mad_u64_u32 v[82:83], s[16:17], s12, v62, v[60:61]
	v_addc_co_u32_e32 v77, vcc, 0, v57, vcc
	v_lshlrev_b64 v[56:57], 4, v[58:59]
	v_add_u32_e32 v83, s15, v83
	v_add_co_u32_e32 v56, vcc, v22, v56
	v_addc_co_u32_e32 v57, vcc, v23, v57, vcc
	global_load_dwordx4 v[156:159], v[74:75], off offset:1024
	global_load_dwordx4 v[118:121], v122, s[0:1]
	global_load_dwordx4 v[52:55], v[60:61], off
	global_load_dwordx4 v[174:177], v[76:77], off offset:1536
	v_add_co_u32_e32 v90, vcc, s8, v82
	global_load_dwordx4 v[56:59], v[56:57], off
	s_nop 0
	global_load_dwordx4 v[60:63], v[82:83], off
	global_load_dwordx4 v[114:117], v20, s[0:1] offset:3072
	v_mov_b32_e32 v82, v87
	v_mad_u64_u32 v[87:88], s[16:17], s13, v171, v[82:83]
	v_addc_co_u32_e32 v91, vcc, v83, v84, vcc
	global_load_dwordx4 v[82:85], v[90:91], off
	global_load_dwordx4 v[152:155], v[64:65], off offset:3584
	v_lshlrev_b64 v[64:65], 4, v[86:87]
	v_or_b32_e32 v99, 0x780, v170
	v_add_co_u32_e32 v64, vcc, v22, v64
	v_addc_co_u32_e32 v65, vcc, v23, v65, vcc
	global_load_dwordx4 v[86:89], v[64:65], off
	v_lshlrev_b32_e32 v64, 4, v171
	buffer_store_dword v64, off, s[48:51], 0 offset:520 ; 4-byte Folded Spill
	global_load_dwordx4 v[136:139], v64, s[0:1]
	v_add_co_u32_e32 v64, vcc, s14, v90
	v_mov_b32_e32 v65, s9
	v_addc_co_u32_e32 v65, vcc, v91, v65, vcc
	global_load_dwordx4 v[90:93], v[64:65], off
	global_load_dwordx4 v[132:135], v[94:95], off offset:512
	v_add_co_u32_e32 v64, vcc, s8, v64
	v_mov_b32_e32 v94, s7
	v_addc_co_u32_e32 v65, vcc, v65, v94, vcc
	global_load_dwordx4 v[94:97], v[64:65], off
	global_load_dwordx4 v[140:143], v[70:71], off offset:1024
	v_mad_u64_u32 v[70:71], s[16:17], s12, v99, 0
	v_add_co_u32_e32 v64, vcc, s8, v64
	v_mad_u64_u32 v[102:103], s[12:13], s13, v99, v[71:72]
	v_mov_b32_e32 v98, s7
	v_mov_b32_e32 v103, v99
	buffer_store_dword v103, off, s[48:51], 0 ; 4-byte Folded Spill
	v_addc_co_u32_e32 v65, vcc, v65, v98, vcc
	v_mov_b32_e32 v71, v102
	global_load_dwordx4 v[98:101], v[64:65], off
	global_load_dwordx4 v[144:147], v[68:69], off offset:1536
	v_lshlrev_b64 v[68:69], 4, v[70:71]
	s_mov_b32 s16, 0x4755a5e
	v_add_co_u32_e32 v22, vcc, v22, v68
	v_addc_co_u32_e32 v23, vcc, v23, v69, vcc
	global_load_dwordx4 v[68:71], v[22:23], off
	v_lshlrev_b32_e32 v22, 4, v103
	buffer_store_dword v22, off, s[48:51], 0 offset:524 ; 4-byte Folded Spill
	global_load_dwordx4 v[128:131], v22, s[0:1]
	v_add_co_u32_e32 v22, vcc, s14, v64
	v_mov_b32_e32 v23, s9
	v_addc_co_u32_e32 v23, vcc, v65, v23, vcc
	global_load_dwordx4 v[102:105], v[22:23], off
	global_load_dwordx4 v[124:127], v[74:75], off offset:2560
	v_add_co_u32_e32 v22, vcc, s8, v22
	v_mov_b32_e32 v64, s7
	v_addc_co_u32_e32 v23, vcc, v23, v64, vcc
	global_load_dwordx4 v[106:109], v[22:23], off
	global_load_dwordx4 v[110:113], v[76:77], off offset:3072
	v_add_co_u32_e32 v22, vcc, s8, v22
	v_addc_co_u32_e32 v23, vcc, v23, v64, vcc
	global_load_dwordx4 v[74:77], v[22:23], off
	s_nop 0
	global_load_dwordx4 v[64:67], v[66:67], off offset:3584
	s_nop 0
	buffer_store_dword v148, off, s[48:51], 0 offset:472 ; 4-byte Folded Spill
	s_nop 0
	buffer_store_dword v149, off, s[48:51], 0 offset:476 ; 4-byte Folded Spill
	buffer_store_dword v150, off, s[48:51], 0 offset:480 ; 4-byte Folded Spill
	;; [unrolled: 1-line block ×3, first 2 shown]
	s_load_dwordx4 s[8:11], s[10:11], 0x0
	ds_write_b128 v20, v[12:15] offset:23040
	s_mov_b32 s14, 0x134454ff
	s_mov_b32 s15, 0x3fee6f0e
	s_mov_b32 s17, 0x3fe2cf23
	s_mov_b32 s18, s14
	s_mov_b32 s22, s16
	s_movk_i32 s0, 0xc0
	s_mov_b32 s13, 0xbfebb67a
	v_mul_f64 v[22:23], v[0:1], v[150:151]
	v_fma_f64 v[0:1], v[0:1], v[148:149], v[72:73]
	v_fma_f64 v[2:3], v[2:3], v[148:149], -v[22:23]
	ds_write_b128 v20, v[4:7] offset:27648
	ds_write_b128 v20, v[8:11] offset:32256
	;; [unrolled: 1-line block ×8, first 2 shown]
	s_waitcnt vmcnt(38)
	buffer_store_dword v178, off, s[48:51], 0 offset:488 ; 4-byte Folded Spill
	s_nop 0
	buffer_store_dword v179, off, s[48:51], 0 offset:492 ; 4-byte Folded Spill
	buffer_store_dword v180, off, s[48:51], 0 offset:496 ; 4-byte Folded Spill
	buffer_store_dword v181, off, s[48:51], 0 offset:500 ; 4-byte Folded Spill
	s_waitcnt vmcnt(41)
	buffer_store_dword v164, off, s[48:51], 0 offset:456 ; 4-byte Folded Spill
	s_nop 0
	buffer_store_dword v165, off, s[48:51], 0 offset:460 ; 4-byte Folded Spill
	buffer_store_dword v166, off, s[48:51], 0 offset:464 ; 4-byte Folded Spill
	buffer_store_dword v167, off, s[48:51], 0 offset:468 ; 4-byte Folded Spill
	;; [unrolled: 6-line block ×5, first 2 shown]
	buffer_store_dword v118, off, s[48:51], 0 offset:392 ; 4-byte Folded Spill
	s_nop 0
	buffer_store_dword v119, off, s[48:51], 0 offset:396 ; 4-byte Folded Spill
	buffer_store_dword v120, off, s[48:51], 0 offset:400 ; 4-byte Folded Spill
	;; [unrolled: 1-line block ×3, first 2 shown]
	s_waitcnt vmcnt(49)
	buffer_store_dword v114, off, s[48:51], 0 offset:248 ; 4-byte Folded Spill
	s_nop 0
	buffer_store_dword v115, off, s[48:51], 0 offset:252 ; 4-byte Folded Spill
	buffer_store_dword v116, off, s[48:51], 0 offset:256 ; 4-byte Folded Spill
	;; [unrolled: 1-line block ×3, first 2 shown]
	s_waitcnt vmcnt(51)
	buffer_store_dword v152, off, s[48:51], 0 offset:232 ; 4-byte Folded Spill
	s_nop 0
	buffer_store_dword v153, off, s[48:51], 0 offset:236 ; 4-byte Folded Spill
	buffer_store_dword v154, off, s[48:51], 0 offset:240 ; 4-byte Folded Spill
	;; [unrolled: 1-line block ×3, first 2 shown]
	v_mul_f64 v[0:1], v[38:39], v[180:181]
	v_mul_f64 v[2:3], v[36:37], v[180:181]
	;; [unrolled: 1-line block ×16, first 2 shown]
	v_fma_f64 v[0:1], v[36:37], v[178:179], v[0:1]
	v_fma_f64 v[2:3], v[38:39], v[178:179], -v[2:3]
	v_fma_f64 v[4:5], v[40:41], v[164:165], v[4:5]
	v_fma_f64 v[6:7], v[42:43], v[164:165], -v[6:7]
	;; [unrolled: 2-line block ×8, first 2 shown]
	ds_write_b128 v20, v[0:3] offset:19968
	ds_write_b128 v20, v[4:7] offset:24576
	;; [unrolled: 1-line block ×8, first 2 shown]
	s_waitcnt vmcnt(52)
	buffer_store_dword v136, off, s[48:51], 0 offset:184 ; 4-byte Folded Spill
	s_nop 0
	buffer_store_dword v137, off, s[48:51], 0 offset:188 ; 4-byte Folded Spill
	buffer_store_dword v138, off, s[48:51], 0 offset:192 ; 4-byte Folded Spill
	buffer_store_dword v139, off, s[48:51], 0 offset:196 ; 4-byte Folded Spill
	s_waitcnt vmcnt(54)
	buffer_store_dword v132, off, s[48:51], 0 offset:152 ; 4-byte Folded Spill
	s_nop 0
	buffer_store_dword v133, off, s[48:51], 0 offset:156 ; 4-byte Folded Spill
	buffer_store_dword v134, off, s[48:51], 0 offset:160 ; 4-byte Folded Spill
	buffer_store_dword v135, off, s[48:51], 0 offset:164 ; 4-byte Folded Spill
	;; [unrolled: 6-line block ×5, first 2 shown]
	v_mul_f64 v[16:17], v[70:71], v[130:131]
	v_mul_f64 v[18:19], v[68:69], v[130:131]
	buffer_store_dword v128, off, s[48:51], 0 offset:168 ; 4-byte Folded Spill
	s_nop 0
	buffer_store_dword v129, off, s[48:51], 0 offset:172 ; 4-byte Folded Spill
	buffer_store_dword v130, off, s[48:51], 0 offset:176 ; 4-byte Folded Spill
	buffer_store_dword v131, off, s[48:51], 0 offset:180 ; 4-byte Folded Spill
	v_mul_f64 v[22:23], v[104:105], v[126:127]
	v_mul_f64 v[24:25], v[102:103], v[126:127]
	buffer_store_dword v124, off, s[48:51], 0 offset:136 ; 4-byte Folded Spill
	s_nop 0
	buffer_store_dword v125, off, s[48:51], 0 offset:140 ; 4-byte Folded Spill
	buffer_store_dword v126, off, s[48:51], 0 offset:144 ; 4-byte Folded Spill
	buffer_store_dword v127, off, s[48:51], 0 offset:148 ; 4-byte Folded Spill
	;; [unrolled: 7-line block ×3, first 2 shown]
	v_mul_f64 v[0:1], v[88:89], v[138:139]
	v_mul_f64 v[2:3], v[86:87], v[138:139]
	;; [unrolled: 1-line block ×10, first 2 shown]
	v_fma_f64 v[0:1], v[86:87], v[136:137], v[0:1]
	v_fma_f64 v[2:3], v[88:89], v[136:137], -v[2:3]
	v_fma_f64 v[4:5], v[90:91], v[132:133], v[4:5]
	v_fma_f64 v[6:7], v[92:93], v[132:133], -v[6:7]
	;; [unrolled: 2-line block ×8, first 2 shown]
	ds_write_b128 v20, v[0:3] offset:12288
	ds_write_b128 v20, v[4:7] offset:16896
	;; [unrolled: 1-line block ×8, first 2 shown]
	s_waitcnt vmcnt(0) lgkmcnt(0)
	s_barrier
	ds_read_b128 v[4:7], v20
	ds_read_b128 v[0:3], v20 offset:9216
	ds_read_b128 v[8:11], v20 offset:18432
	;; [unrolled: 1-line block ×9, first 2 shown]
	s_waitcnt lgkmcnt(8)
	v_add_f64 v[16:17], v[4:5], v[0:1]
	s_waitcnt lgkmcnt(7)
	v_add_f64 v[84:85], v[0:1], -v[8:9]
	s_waitcnt lgkmcnt(6)
	v_add_f64 v[18:19], v[8:9], v[12:13]
	s_waitcnt lgkmcnt(1)
	v_add_f64 v[38:39], v[2:3], -v[74:75]
	v_add_f64 v[86:87], v[0:1], v[72:73]
	v_add_f64 v[82:83], v[10:11], -v[14:15]
	v_add_f64 v[88:89], v[72:73], -v[12:13]
	;; [unrolled: 1-line block ×3, first 2 shown]
	v_add_f64 v[16:17], v[16:17], v[8:9]
	v_add_f64 v[92:93], v[12:13], -v[72:73]
	v_fma_f64 v[18:19], v[18:19], -0.5, v[4:5]
	v_add_f64 v[0:1], v[0:1], -v[72:73]
	v_fma_f64 v[4:5], v[86:87], -0.5, v[4:5]
	v_add_f64 v[86:87], v[10:11], v[14:15]
	v_add_f64 v[84:85], v[84:85], v[88:89]
	v_add_f64 v[8:9], v[8:9], -v[12:13]
	v_add_f64 v[16:17], v[16:17], v[12:13]
	v_add_f64 v[12:13], v[2:3], -v[10:11]
	v_fma_f64 v[80:81], v[38:39], s[14:15], v[18:19]
	v_fma_f64 v[18:19], v[38:39], s[18:19], v[18:19]
	;; [unrolled: 1-line block ×4, first 2 shown]
	v_fma_f64 v[86:87], v[86:87], -0.5, v[6:7]
	v_add_f64 v[94:95], v[28:29], -v[32:33]
	v_add_f64 v[16:17], v[16:17], v[72:73]
	s_waitcnt lgkmcnt(0)
	v_add_f64 v[100:101], v[36:37], -v[78:79]
	v_fma_f64 v[80:81], v[82:83], s[16:17], v[80:81]
	v_fma_f64 v[18:19], v[82:83], s[22:23], v[18:19]
	v_add_f64 v[82:83], v[6:7], v[2:3]
	v_fma_f64 v[4:5], v[38:39], s[22:23], v[4:5]
	v_add_f64 v[96:97], v[78:79], -v[36:37]
	ds_read_b128 v[68:71], v20 offset:1536
	ds_read_b128 v[48:51], v20 offset:6144
	;; [unrolled: 1-line block ×7, first 2 shown]
	v_fma_f64 v[72:73], v[84:85], s[20:21], v[80:81]
	v_fma_f64 v[80:81], v[38:39], s[16:17], v[88:89]
	v_add_f64 v[88:89], v[2:3], v[74:75]
	v_fma_f64 v[18:19], v[84:85], s[20:21], v[18:19]
	v_add_f64 v[84:85], v[90:91], v[92:93]
	v_add_f64 v[38:39], v[82:83], v[10:11]
	v_fma_f64 v[82:83], v[0:1], s[18:19], v[86:87]
	v_add_f64 v[90:91], v[74:75], -v[14:15]
	v_fma_f64 v[86:87], v[0:1], s[14:15], v[86:87]
	v_add_f64 v[2:3], v[10:11], -v[2:3]
	v_fma_f64 v[6:7], v[88:89], -0.5, v[6:7]
	v_add_f64 v[10:11], v[14:15], -v[74:75]
	v_fma_f64 v[80:81], v[84:85], s[20:21], v[80:81]
	v_fma_f64 v[84:85], v[84:85], s[20:21], v[4:5]
	v_add_f64 v[4:5], v[38:39], v[14:15]
	v_add_f64 v[38:39], v[30:31], v[34:35]
	;; [unrolled: 1-line block ×3, first 2 shown]
	v_fma_f64 v[86:87], v[8:9], s[16:17], v[86:87]
	v_fma_f64 v[88:89], v[8:9], s[14:15], v[6:7]
	v_add_f64 v[14:15], v[22:23], v[26:27]
	v_fma_f64 v[6:7], v[8:9], s[18:19], v[6:7]
	v_fma_f64 v[82:83], v[8:9], s[22:23], v[82:83]
	v_add_f64 v[90:91], v[28:29], -v[78:79]
	v_fma_f64 v[38:39], v[38:39], -0.5, v[22:23]
	v_add_f64 v[74:75], v[4:5], v[74:75]
	v_add_f64 v[2:3], v[2:3], v[10:11]
	v_fma_f64 v[4:5], v[0:1], s[22:23], v[88:89]
	v_fma_f64 v[88:89], v[12:13], s[20:21], v[86:87]
	v_add_f64 v[8:9], v[14:15], v[30:31]
	v_add_f64 v[14:15], v[26:27], -v[30:31]
	v_add_f64 v[86:87], v[76:77], -v[34:35]
	v_fma_f64 v[0:1], v[0:1], s[16:17], v[6:7]
	v_fma_f64 v[82:83], v[12:13], s[20:21], v[82:83]
	;; [unrolled: 1-line block ×3, first 2 shown]
	v_add_f64 v[12:13], v[32:33], -v[36:37]
	v_fma_f64 v[92:93], v[2:3], s[20:21], v[4:5]
	v_fma_f64 v[4:5], v[90:91], s[18:19], v[38:39]
	v_add_f64 v[6:7], v[26:27], v[76:77]
	v_add_f64 v[38:39], v[32:33], v[36:37]
	;; [unrolled: 1-line block ×3, first 2 shown]
	v_fma_f64 v[86:87], v[2:3], s[20:21], v[0:1]
	v_add_f64 v[0:1], v[28:29], v[78:79]
	v_add_f64 v[8:9], v[8:9], v[34:35]
	v_fma_f64 v[10:11], v[12:13], s[16:17], v[10:11]
	v_fma_f64 v[2:3], v[12:13], s[22:23], v[4:5]
	v_fma_f64 v[4:5], v[6:7], -0.5, v[22:23]
	v_fma_f64 v[6:7], v[38:39], -0.5, v[24:25]
	v_add_f64 v[38:39], v[30:31], -v[34:35]
	v_add_f64 v[34:35], v[34:35], -v[76:77]
	v_fma_f64 v[0:1], v[0:1], -0.5, v[24:25]
	v_add_f64 v[22:23], v[8:9], v[76:77]
	v_add_f64 v[8:9], v[26:27], -v[76:77]
	v_add_f64 v[24:25], v[24:25], v[28:29]
	v_add_f64 v[28:29], v[32:33], -v[28:29]
	v_fma_f64 v[10:11], v[14:15], s[20:21], v[10:11]
	v_fma_f64 v[2:3], v[14:15], s[20:21], v[2:3]
	;; [unrolled: 1-line block ×4, first 2 shown]
	v_add_f64 v[26:27], v[30:31], -v[26:27]
	v_fma_f64 v[30:31], v[8:9], s[18:19], v[6:7]
	v_fma_f64 v[4:5], v[12:13], s[14:15], v[4:5]
	v_add_f64 v[12:13], v[24:25], v[32:33]
	v_add_f64 v[28:29], v[28:29], v[100:101]
	v_fma_f64 v[6:7], v[8:9], s[14:15], v[6:7]
	v_fma_f64 v[0:1], v[38:39], s[18:19], v[0:1]
	;; [unrolled: 1-line block ×5, first 2 shown]
	v_add_f64 v[30:31], v[94:95], v[96:97]
	v_add_f64 v[26:27], v[26:27], v[34:35]
	v_fma_f64 v[4:5], v[90:91], s[22:23], v[4:5]
	v_add_f64 v[12:13], v[12:13], v[36:37]
	v_fma_f64 v[6:7], v[38:39], s[16:17], v[6:7]
	v_fma_f64 v[32:33], v[28:29], s[20:21], v[32:33]
	;; [unrolled: 1-line block ×3, first 2 shown]
	v_mul_f64 v[8:9], v[10:11], s[30:31]
	v_fma_f64 v[24:25], v[30:31], s[20:21], v[24:25]
	v_fma_f64 v[14:15], v[26:27], s[20:21], v[14:15]
	;; [unrolled: 1-line block ×3, first 2 shown]
	v_add_f64 v[34:35], v[12:13], v[78:79]
	v_mul_f64 v[10:11], v[10:11], s[22:23]
	v_mul_f64 v[12:13], v[32:33], s[14:15]
	v_fma_f64 v[4:5], v[30:31], s[20:21], v[6:7]
	v_fma_f64 v[6:7], v[28:29], s[20:21], v[0:1]
	;; [unrolled: 1-line block ×3, first 2 shown]
	v_mul_f64 v[30:31], v[2:3], s[26:27]
	v_mul_f64 v[8:9], v[26:27], s[28:29]
	ds_read_b128 v[64:67], v20 offset:38400
	v_fma_f64 v[90:91], v[24:25], s[30:31], v[10:11]
	v_fma_f64 v[76:77], v[14:15], s[20:21], v[12:13]
	v_mul_f64 v[12:13], v[14:15], s[18:19]
	s_waitcnt lgkmcnt(1)
	v_add_f64 v[24:25], v[56:57], v[60:61]
	v_add_f64 v[0:1], v[16:17], v[22:23]
	v_mul_f64 v[36:37], v[4:5], s[26:27]
	v_fma_f64 v[78:79], v[6:7], s[14:15], v[8:9]
	v_fma_f64 v[30:31], v[4:5], s[16:17], v[30:31]
	s_waitcnt lgkmcnt(0)
	v_add_f64 v[100:101], v[54:55], -v[66:67]
	v_mul_f64 v[14:15], v[6:7], s[28:29]
	v_fma_f64 v[94:95], v[32:33], s[20:21], v[12:13]
	v_add_f64 v[32:33], v[16:17], -v[22:23]
	v_fma_f64 v[22:23], v[24:25], -0.5, v[68:69]
	v_add_f64 v[8:9], v[72:73], v[28:29]
	v_add_f64 v[4:5], v[80:81], v[76:77]
	v_fma_f64 v[98:99], v[2:3], s[22:23], v[36:37]
	v_add_f64 v[12:13], v[84:85], v[78:79]
	v_add_f64 v[36:37], v[18:19], v[30:31]
	;; [unrolled: 1-line block ×3, first 2 shown]
	v_add_f64 v[28:29], v[72:73], -v[28:29]
	v_add_f64 v[24:25], v[80:81], -v[76:77]
	;; [unrolled: 1-line block ×5, first 2 shown]
	v_add_f64 v[18:19], v[52:53], v[64:65]
	v_fma_f64 v[72:73], v[100:101], s[14:15], v[22:23]
	v_add_f64 v[74:75], v[58:59], -v[62:63]
	v_add_f64 v[76:77], v[52:53], -v[56:57]
	;; [unrolled: 1-line block ×3, first 2 shown]
	v_fma_f64 v[22:23], v[100:101], s[18:19], v[22:23]
	v_add_f64 v[80:81], v[68:69], v[52:53]
	v_fma_f64 v[96:97], v[26:27], s[18:19], v[14:15]
	v_add_f64 v[10:11], v[82:83], v[90:91]
	v_add_f64 v[6:7], v[92:93], v[94:95]
	;; [unrolled: 1-line block ×3, first 2 shown]
	v_add_f64 v[30:31], v[82:83], -v[90:91]
	v_add_f64 v[26:27], v[92:93], -v[94:95]
	v_fma_f64 v[68:69], v[18:19], -0.5, v[68:69]
	v_add_f64 v[18:19], v[88:89], -v[98:99]
	v_fma_f64 v[72:73], v[74:75], s[16:17], v[72:73]
	v_add_f64 v[76:77], v[76:77], v[78:79]
	v_fma_f64 v[22:23], v[74:75], s[22:23], v[22:23]
	v_add_f64 v[78:79], v[80:81], v[56:57]
	v_add_f64 v[80:81], v[58:59], v[62:63]
	v_add_f64 v[88:89], v[56:57], -v[52:53]
	v_add_f64 v[90:91], v[60:61], -v[64:65]
	v_add_f64 v[92:93], v[70:71], v[54:55]
	v_fma_f64 v[82:83], v[74:75], s[18:19], v[68:69]
	v_fma_f64 v[102:103], v[76:77], s[20:21], v[72:73]
	;; [unrolled: 1-line block ×4, first 2 shown]
	v_fma_f64 v[80:81], v[80:81], -0.5, v[70:71]
	v_add_f64 v[52:53], v[52:53], -v[64:65]
	v_add_f64 v[88:89], v[88:89], v[90:91]
	v_add_f64 v[68:69], v[92:93], v[58:59]
	v_add_f64 v[90:91], v[54:55], -v[58:59]
	v_add_f64 v[92:93], v[66:67], -v[62:63]
	v_add_f64 v[94:95], v[54:55], v[66:67]
	ds_read_b128 v[74:77], v20 offset:33792
	v_add_f64 v[14:15], v[86:87], v[96:97]
	v_add_f64 v[86:87], v[86:87], -v[96:97]
	v_fma_f64 v[96:97], v[52:53], s[18:19], v[80:81]
	v_add_f64 v[56:57], v[56:57], -v[60:61]
	v_add_f64 v[60:61], v[78:79], v[60:61]
	v_add_f64 v[78:79], v[68:69], v[62:63]
	;; [unrolled: 1-line block ×3, first 2 shown]
	v_fma_f64 v[92:93], v[94:95], -0.5, v[70:71]
	s_waitcnt lgkmcnt(0)
	v_add_f64 v[94:95], v[44:45], v[74:75]
	v_fma_f64 v[80:81], v[52:53], s[14:15], v[80:81]
	ds_read_b128 v[68:71], v20 offset:43008
	v_fma_f64 v[82:83], v[100:101], s[16:17], v[82:83]
	v_fma_f64 v[22:23], v[100:101], s[22:23], v[22:23]
	;; [unrolled: 1-line block ×3, first 2 shown]
	v_add_f64 v[60:61], v[60:61], v[64:65]
	v_add_f64 v[64:65], v[78:79], v[66:67]
	v_fma_f64 v[78:79], v[94:95], -0.5, v[48:49]
	s_waitcnt lgkmcnt(0)
	v_add_f64 v[94:95], v[42:43], -v[70:71]
	v_fma_f64 v[80:81], v[56:57], s[16:17], v[80:81]
	v_add_f64 v[54:55], v[58:59], -v[54:55]
	v_fma_f64 v[58:59], v[56:57], s[14:15], v[92:93]
	;; [unrolled: 2-line block ×3, first 2 shown]
	v_fma_f64 v[100:101], v[88:89], s[20:21], v[82:83]
	v_fma_f64 v[22:23], v[88:89], s[20:21], v[22:23]
	;; [unrolled: 1-line block ×3, first 2 shown]
	v_add_f64 v[66:67], v[48:49], v[40:41]
	v_fma_f64 v[82:83], v[94:95], s[14:15], v[78:79]
	v_add_f64 v[88:89], v[46:47], -v[76:77]
	v_add_f64 v[92:93], v[40:41], -v[44:45]
	;; [unrolled: 1-line block ×3, first 2 shown]
	v_fma_f64 v[58:59], v[52:53], s[22:23], v[58:59]
	v_add_f64 v[54:55], v[54:55], v[62:63]
	v_fma_f64 v[62:63], v[94:95], s[18:19], v[78:79]
	v_fma_f64 v[52:53], v[52:53], s[16:17], v[56:57]
	;; [unrolled: 1-line block ×3, first 2 shown]
	v_add_f64 v[56:57], v[66:67], v[44:45]
	v_fma_f64 v[66:67], v[88:89], s[16:17], v[82:83]
	v_add_f64 v[78:79], v[92:93], v[96:97]
	v_add_f64 v[80:81], v[50:51], v[42:43]
	v_fma_f64 v[108:109], v[54:55], s[20:21], v[58:59]
	v_fma_f64 v[58:59], v[88:89], s[22:23], v[62:63]
	v_add_f64 v[62:63], v[40:41], v[68:69]
	v_fma_f64 v[110:111], v[54:55], s[20:21], v[52:53]
	v_add_f64 v[54:55], v[42:43], v[70:71]
	v_add_f64 v[52:53], v[56:57], v[74:75]
	v_fma_f64 v[56:57], v[78:79], s[20:21], v[66:67]
	v_add_f64 v[66:67], v[80:81], v[46:47]
	v_add_f64 v[80:81], v[46:47], v[76:77]
	v_fma_f64 v[58:59], v[78:79], s[20:21], v[58:59]
	v_fma_f64 v[48:49], v[62:63], -0.5, v[48:49]
	v_add_f64 v[62:63], v[44:45], -v[40:41]
	v_add_f64 v[44:45], v[44:45], -v[74:75]
	v_fma_f64 v[54:55], v[54:55], -0.5, v[50:51]
	v_add_f64 v[74:75], v[74:75], -v[68:69]
	v_add_f64 v[66:67], v[66:67], v[76:77]
	v_fma_f64 v[50:51], v[80:81], -0.5, v[50:51]
	v_add_f64 v[40:41], v[40:41], -v[68:69]
	v_add_f64 v[78:79], v[42:43], -v[46:47]
	v_add_f64 v[42:43], v[46:47], -v[42:43]
	v_add_f64 v[46:47], v[70:71], -v[76:77]
	v_fma_f64 v[90:91], v[44:45], s[14:15], v[54:55]
	v_add_f64 v[76:77], v[76:77], -v[70:71]
	v_add_f64 v[62:63], v[62:63], v[74:75]
	v_fma_f64 v[74:75], v[88:89], s[18:19], v[48:49]
	v_fma_f64 v[48:49], v[88:89], s[14:15], v[48:49]
	;; [unrolled: 1-line block ×4, first 2 shown]
	v_add_f64 v[46:47], v[78:79], v[46:47]
	v_fma_f64 v[78:79], v[40:41], s[22:23], v[90:91]
	v_add_f64 v[42:43], v[42:43], v[76:77]
	v_fma_f64 v[50:51], v[40:41], s[14:15], v[50:51]
	v_fma_f64 v[74:75], v[94:95], s[16:17], v[74:75]
	;; [unrolled: 1-line block ×5, first 2 shown]
	v_add_f64 v[52:53], v[52:53], v[68:69]
	v_mul_f64 v[68:69], v[56:57], s[30:31]
	v_fma_f64 v[54:55], v[42:43], s[20:21], v[78:79]
	v_fma_f64 v[44:45], v[44:45], s[16:17], v[50:51]
	v_add_f64 v[66:67], v[66:67], v[70:71]
	v_fma_f64 v[48:49], v[62:63], s[20:21], v[48:49]
	v_fma_f64 v[50:51], v[46:47], s[20:21], v[76:77]
	;; [unrolled: 1-line block ×4, first 2 shown]
	v_mul_f64 v[56:57], v[56:57], s[22:23]
	v_mul_f64 v[70:71], v[54:55], s[14:15]
	v_fma_f64 v[42:43], v[46:47], s[20:21], v[44:45]
	v_mul_f64 v[46:47], v[58:59], s[26:27]
	v_mul_f64 v[44:45], v[48:49], s[28:29]
	v_fma_f64 v[68:69], v[50:51], s[16:17], v[68:69]
	v_mul_f64 v[74:75], v[62:63], s[18:19]
	ds_read_b128 v[80:83], v20 offset:3072
	ds_read_b128 v[88:91], v20 offset:12288
	v_fma_f64 v[62:63], v[62:63], s[20:21], v[70:71]
	v_mul_f64 v[70:71], v[40:41], s[28:29]
	v_mul_f64 v[76:77], v[42:43], s[26:27]
	v_fma_f64 v[78:79], v[40:41], s[14:15], v[44:45]
	v_fma_f64 v[112:113], v[42:43], s[16:17], v[46:47]
	;; [unrolled: 1-line block ×3, first 2 shown]
	v_add_f64 v[44:45], v[60:61], v[52:53]
	v_add_f64 v[40:41], v[102:103], v[68:69]
	;; [unrolled: 1-line block ×3, first 2 shown]
	v_fma_f64 v[70:71], v[48:49], s[18:19], v[70:71]
	v_add_f64 v[48:49], v[60:61], -v[52:53]
	v_add_f64 v[50:51], v[64:65], -v[66:67]
	v_add_f64 v[56:57], v[100:101], v[62:63]
	v_add_f64 v[52:53], v[102:103], -v[68:69]
	v_add_f64 v[64:65], v[22:23], v[78:79]
	v_add_f64 v[60:61], v[100:101], -v[62:63]
	s_waitcnt lgkmcnt(0)
	v_add_f64 v[100:101], v[80:81], v[88:89]
	v_add_f64 v[68:69], v[22:23], -v[78:79]
	v_add_f64 v[22:23], v[82:83], v[90:91]
	ds_read_b128 v[92:95], v20 offset:21504
	v_fma_f64 v[74:75], v[54:55], s[20:21], v[74:75]
	v_fma_f64 v[116:117], v[58:59], s[22:23], v[76:77]
	ds_read_b128 v[96:99], v20 offset:30720
	v_add_f64 v[42:43], v[104:105], v[114:115]
	s_waitcnt lgkmcnt(1)
	v_add_f64 v[100:101], v[100:101], v[92:93]
	v_add_f64 v[54:55], v[104:105], -v[114:115]
	v_add_f64 v[22:23], v[22:23], v[94:95]
	v_add_f64 v[66:67], v[110:111], v[70:71]
	;; [unrolled: 1-line block ×3, first 2 shown]
	v_add_f64 v[62:63], v[108:109], -v[74:75]
	v_add_f64 v[70:71], v[110:111], -v[70:71]
	v_add_f64 v[76:77], v[72:73], v[112:113]
	v_add_f64 v[78:79], v[106:107], v[116:117]
	v_add_f64 v[72:73], v[72:73], -v[112:113]
	v_add_f64 v[74:75], v[106:107], -v[116:117]
	s_waitcnt lgkmcnt(0)
	v_add_f64 v[104:105], v[92:93], v[96:97]
	v_add_f64 v[116:117], v[94:95], -v[98:99]
	v_add_f64 v[106:107], v[88:89], -v[92:93]
	v_add_f64 v[108:109], v[92:93], -v[88:89]
	v_add_f64 v[110:111], v[94:95], v[98:99]
	v_add_f64 v[118:119], v[92:93], -v[96:97]
	v_add_f64 v[112:113], v[90:91], -v[94:95]
	;; [unrolled: 1-line block ×3, first 2 shown]
	ds_read_b128 v[92:95], v20 offset:39936
	v_add_f64 v[22:23], v[22:23], v[98:99]
	v_fma_f64 v[168:169], v[110:111], -0.5, v[82:83]
	s_waitcnt lgkmcnt(0)
	v_add_f64 v[124:125], v[88:89], v[92:93]
	v_add_f64 v[126:127], v[88:89], -v[92:93]
	v_add_f64 v[88:89], v[100:101], v[96:97]
	v_add_f64 v[120:121], v[90:91], -v[94:95]
	;; [unrolled: 2-line block ×3, first 2 shown]
	v_add_f64 v[132:133], v[96:97], -v[92:93]
	v_add_f64 v[134:135], v[94:95], -v[98:99]
	v_add_f64 v[136:137], v[98:99], -v[94:95]
	v_add_f64 v[22:23], v[22:23], v[94:95]
	v_add_f64 v[138:139], v[88:89], v[92:93]
	ds_read_b128 v[88:91], v20 offset:7680
	ds_read_b128 v[92:95], v20 offset:16896
	;; [unrolled: 1-line block ×3, first 2 shown]
	v_fma_f64 v[110:111], v[128:129], -0.5, v[82:83]
	v_fma_f64 v[124:125], v[124:125], -0.5, v[80:81]
	v_add_f64 v[108:109], v[108:109], v[132:133]
	s_waitcnt lgkmcnt(1)
	v_add_f64 v[100:101], v[88:89], v[92:93]
	s_waitcnt lgkmcnt(0)
	v_add_f64 v[148:149], v[92:93], -v[96:97]
	v_add_f64 v[150:151], v[96:97], -v[92:93]
	;; [unrolled: 1-line block ×4, first 2 shown]
	v_add_f64 v[140:141], v[100:101], v[96:97]
	v_add_f64 v[100:101], v[90:91], v[94:95]
	;; [unrolled: 1-line block ×3, first 2 shown]
	ds_read_b128 v[100:103], v20 offset:35328
	s_waitcnt lgkmcnt(0)
	v_add_f64 v[144:145], v[96:97], v[100:101]
	v_add_f64 v[146:147], v[98:99], -v[102:103]
	v_add_f64 v[152:153], v[98:99], v[102:103]
	v_add_f64 v[154:155], v[96:97], -v[100:101]
	ds_read_b128 v[96:99], v20 offset:44544
	s_waitcnt lgkmcnt(0)
	s_barrier
	v_fma_f64 v[128:129], v[144:145], -0.5, v[88:89]
	v_add_f64 v[160:161], v[94:95], -v[98:99]
	v_add_f64 v[162:163], v[92:93], v[96:97]
	v_add_f64 v[164:165], v[92:93], -v[96:97]
	v_add_f64 v[92:93], v[94:95], v[98:99]
	v_add_f64 v[94:95], v[140:141], v[100:101]
	v_add_f64 v[140:141], v[142:143], v[102:103]
	v_add_f64 v[142:143], v[96:97], -v[100:101]
	v_add_f64 v[100:101], v[100:101], -v[96:97]
	v_fma_f64 v[152:153], v[152:153], -0.5, v[90:91]
	v_fma_f64 v[144:145], v[162:163], -0.5, v[88:89]
	v_add_f64 v[166:167], v[98:99], -v[102:103]
	v_fma_f64 v[162:163], v[92:93], -0.5, v[90:91]
	v_add_f64 v[94:95], v[94:95], v[96:97]
	v_add_f64 v[96:97], v[140:141], v[98:99]
	v_fma_f64 v[92:93], v[160:161], s[14:15], v[128:129]
	v_fma_f64 v[140:141], v[104:105], -0.5, v[80:81]
	v_add_f64 v[102:103], v[102:103], -v[98:99]
	v_add_f64 v[80:81], v[138:139], v[94:95]
	v_add_f64 v[82:83], v[22:23], v[96:97]
	v_add_f64 v[88:89], v[138:139], -v[94:95]
	v_add_f64 v[90:91], v[22:23], -v[96:97]
	v_add_f64 v[22:23], v[106:107], v[130:131]
	v_add_f64 v[130:131], v[112:113], v[134:135]
	;; [unrolled: 1-line block ×3, first 2 shown]
	v_fma_f64 v[92:93], v[146:147], s[16:17], v[92:93]
	v_fma_f64 v[94:95], v[164:165], s[18:19], v[152:153]
	v_add_f64 v[138:139], v[156:157], v[166:167]
	v_add_f64 v[112:113], v[114:115], v[136:137]
	;; [unrolled: 1-line block ×3, first 2 shown]
	v_fma_f64 v[100:101], v[154:155], s[14:15], v[162:163]
	v_add_f64 v[132:133], v[158:159], v[102:103]
	v_fma_f64 v[102:103], v[146:147], s[18:19], v[144:145]
	v_fma_f64 v[92:93], v[134:135], s[20:21], v[92:93]
	;; [unrolled: 1-line block ×5, first 2 shown]
	v_mul_f64 v[96:97], v[92:93], s[30:31]
	v_fma_f64 v[94:95], v[138:139], s[20:21], v[94:95]
	v_mul_f64 v[92:93], v[92:93], s[22:23]
	v_fma_f64 v[100:101], v[132:133], s[20:21], v[100:101]
	v_fma_f64 v[102:103], v[114:115], s[20:21], v[102:103]
	;; [unrolled: 1-line block ×10, first 2 shown]
	v_add_f64 v[92:93], v[104:105], v[96:97]
	v_add_f64 v[96:97], v[104:105], -v[96:97]
	v_mul_f64 v[104:105], v[100:101], s[14:15]
	v_add_f64 v[94:95], v[106:107], v[98:99]
	v_add_f64 v[98:99], v[106:107], -v[98:99]
	v_fma_f64 v[104:105], v[102:103], s[20:21], v[104:105]
	v_mul_f64 v[102:103], v[102:103], s[18:19]
	v_fma_f64 v[106:107], v[100:101], s[20:21], v[102:103]
	v_fma_f64 v[100:101], v[116:117], s[18:19], v[124:125]
	;; [unrolled: 1-line block ×14, first 2 shown]
	v_add_f64 v[100:101], v[136:137], v[104:105]
	v_add_f64 v[104:105], v[136:137], -v[104:105]
	v_fma_f64 v[108:109], v[126:127], s[16:17], v[108:109]
	v_fma_f64 v[110:111], v[164:165], s[16:17], v[110:111]
	;; [unrolled: 1-line block ×4, first 2 shown]
	v_add_f64 v[102:103], v[142:143], v[106:107]
	v_add_f64 v[106:107], v[142:143], -v[106:107]
	v_fma_f64 v[136:137], v[112:113], s[20:21], v[108:109]
	v_fma_f64 v[108:109], v[146:147], s[14:15], v[144:145]
	;; [unrolled: 1-line block ×6, first 2 shown]
	v_add_co_u32_e32 v130, vcc, s6, v170
	s_movk_i32 s6, 0xcd
	v_fma_f64 v[108:109], v[114:115], s[20:21], v[108:109]
	v_mul_f64 v[112:113], v[108:109], s[28:29]
	v_fma_f64 v[112:113], v[110:111], s[14:15], v[112:113]
	v_mul_f64 v[110:111], v[110:111], s[28:29]
	v_fma_f64 v[114:115], v[108:109], s[18:19], v[110:111]
	v_add_f64 v[108:109], v[124:125], v[112:113]
	v_add_f64 v[112:113], v[124:125], -v[112:113]
	v_fma_f64 v[124:125], v[160:161], s[18:19], v[128:129]
	v_fma_f64 v[128:129], v[164:165], s[14:15], v[152:153]
	v_add_f64 v[110:111], v[136:137], v[114:115]
	v_add_f64 v[114:115], v[136:137], -v[114:115]
	v_fma_f64 v[124:125], v[146:147], s[22:23], v[124:125]
	v_fma_f64 v[120:121], v[154:155], s[16:17], v[128:129]
	v_add_co_u32_e32 v129, vcc, s0, v170
	v_fma_f64 v[124:125], v[134:135], s[20:21], v[124:125]
	v_fma_f64 v[116:117], v[138:139], s[20:21], v[120:121]
	v_mul_f64 v[118:119], v[124:125], s[26:27]
	v_fma_f64 v[120:121], v[116:117], s[16:17], v[118:119]
	v_mul_f64 v[116:117], v[116:117], s[26:27]
	v_add_f64 v[131:132], v[22:23], -v[120:121]
	v_fma_f64 v[124:125], v[124:125], s[22:23], v[116:117]
	v_add_f64 v[116:117], v[22:23], v[120:121]
	v_mul_lo_u16_e32 v22, 10, v170
	v_lshlrev_b32_e32 v186, 4, v22
	ds_write_b128 v186, v[0:3]
	ds_write_b128 v186, v[8:11] offset:16
	ds_write_b128 v186, v[4:7] offset:32
	;; [unrolled: 1-line block ×4, first 2 shown]
	v_mul_u32_u24_e32 v0, 10, v130
	v_lshlrev_b32_e32 v185, 4, v0
	v_mul_u32_u24_e32 v0, 10, v129
	v_lshlrev_b32_e32 v184, 4, v0
	v_mul_lo_u16_sdwa v0, v170, s6 dst_sel:DWORD dst_unused:UNUSED_PAD src0_sel:BYTE_0 src1_sel:DWORD
	v_lshrrev_b16_e32 v22, 11, v0
	v_mul_lo_u16_e32 v0, 10, v22
	ds_write_b128 v186, v[32:35] offset:80
	ds_write_b128 v186, v[28:31] offset:96
	;; [unrolled: 1-line block ×5, first 2 shown]
	ds_write_b128 v185, v[44:47]
	ds_write_b128 v185, v[40:43] offset:16
	ds_write_b128 v185, v[56:59] offset:32
	;; [unrolled: 1-line block ×9, first 2 shown]
	v_sub_u16_e32 v0, v170, v0
	v_mov_b32_e32 v57, s3
	v_and_b32_e32 v23, 0xff, v0
	v_mov_b32_e32 v56, s2
	v_add_f64 v[118:119], v[126:127], v[124:125]
	v_mad_u64_u32 v[0:1], s[0:1], v23, s43, v[56:57]
	v_add_f64 v[133:134], v[126:127], -v[124:125]
	ds_write_b128 v184, v[80:83]
	ds_write_b128 v184, v[92:95] offset:16
	ds_write_b128 v184, v[100:103] offset:32
	;; [unrolled: 1-line block ×9, first 2 shown]
	s_waitcnt lgkmcnt(0)
	s_barrier
	global_load_dwordx4 v[70:73], v[0:1], off
	global_load_dwordx4 v[66:69], v[0:1], off offset:16
	global_load_dwordx4 v[46:49], v[0:1], off offset:48
	;; [unrolled: 1-line block ×4, first 2 shown]
	v_mul_lo_u16_sdwa v0, v130, s6 dst_sel:DWORD dst_unused:UNUSED_PAD src0_sel:BYTE_0 src1_sel:DWORD
	v_lshrrev_b16_e32 v131, 11, v0
	v_mul_lo_u16_e32 v0, 10, v131
	v_sub_u16_e32 v0, v130, v0
	v_and_b32_e32 v132, 0xff, v0
	v_mad_u64_u32 v[0:1], s[0:1], v132, s43, v[56:57]
	global_load_dwordx4 v[86:89], v[0:1], off
	global_load_dwordx4 v[82:85], v[0:1], off offset:16
	global_load_dwordx4 v[78:81], v[0:1], off offset:32
	;; [unrolled: 1-line block ×4, first 2 shown]
	s_mov_b32 s0, 0xcccd
	v_mul_u32_u24_sdwa v0, v129, s0 dst_sel:DWORD dst_unused:UNUSED_PAD src0_sel:WORD_0 src1_sel:DWORD
	v_lshrrev_b32_e32 v133, 19, v0
	v_mul_lo_u16_e32 v0, 10, v133
	v_sub_u16_e32 v134, v129, v0
	v_mul_lo_u16_e32 v0, 0x50, v134
	v_add_co_u32_e32 v52, vcc, s2, v0
	v_mov_b32_e32 v127, s3
	v_addc_co_u32_e32 v53, vcc, 0, v127, vcc
	global_load_dwordx4 v[94:97], v[52:53], off
	ds_read_b128 v[0:3], v20 offset:7680
	ds_read_b128 v[4:7], v20 offset:15360
	;; [unrolled: 1-line block ×4, first 2 shown]
	s_waitcnt vmcnt(10)
	buffer_store_dword v70, off, s[48:51], 0 offset:712 ; 4-byte Folded Spill
	s_nop 0
	buffer_store_dword v71, off, s[48:51], 0 offset:716 ; 4-byte Folded Spill
	buffer_store_dword v72, off, s[48:51], 0 offset:720 ; 4-byte Folded Spill
	;; [unrolled: 1-line block ×3, first 2 shown]
	ds_read_b128 v[16:19], v20 offset:38400
	ds_read_b128 v[24:27], v20 offset:9216
	;; [unrolled: 1-line block ×3, first 2 shown]
	s_waitcnt vmcnt(13)
	buffer_store_dword v66, off, s[48:51], 0 offset:680 ; 4-byte Folded Spill
	s_nop 0
	buffer_store_dword v67, off, s[48:51], 0 offset:684 ; 4-byte Folded Spill
	buffer_store_dword v68, off, s[48:51], 0 offset:688 ; 4-byte Folded Spill
	;; [unrolled: 1-line block ×3, first 2 shown]
	ds_read_b128 v[42:45], v20 offset:24576
	s_waitcnt vmcnt(15)
	buffer_store_dword v58, off, s[48:51], 0 offset:648 ; 4-byte Folded Spill
	s_nop 0
	buffer_store_dword v59, off, s[48:51], 0 offset:652 ; 4-byte Folded Spill
	buffer_store_dword v60, off, s[48:51], 0 offset:656 ; 4-byte Folded Spill
	;; [unrolled: 1-line block ×4, first 2 shown]
	s_nop 0
	buffer_store_dword v47, off, s[48:51], 0 offset:636 ; 4-byte Folded Spill
	buffer_store_dword v48, off, s[48:51], 0 offset:640 ; 4-byte Folded Spill
	buffer_store_dword v49, off, s[48:51], 0 offset:644 ; 4-byte Folded Spill
	s_waitcnt vmcnt(22)
	buffer_store_dword v62, off, s[48:51], 0 offset:616 ; 4-byte Folded Spill
	s_nop 0
	buffer_store_dword v63, off, s[48:51], 0 offset:620 ; 4-byte Folded Spill
	buffer_store_dword v64, off, s[48:51], 0 offset:624 ; 4-byte Folded Spill
	buffer_store_dword v65, off, s[48:51], 0 offset:628 ; 4-byte Folded Spill
	s_waitcnt vmcnt(25)
	buffer_store_dword v86, off, s[48:51], 0 offset:600 ; 4-byte Folded Spill
	;; [unrolled: 6-line block ×3, first 2 shown]
	s_nop 0
	buffer_store_dword v83, off, s[48:51], 0 offset:588 ; 4-byte Folded Spill
	buffer_store_dword v84, off, s[48:51], 0 offset:592 ; 4-byte Folded Spill
	;; [unrolled: 1-line block ×3, first 2 shown]
	s_movk_i32 s1, 0x120
	v_add_co_u32_e32 v128, vcc, s1, v170
	s_mov_b32 s6, 0xe8584caa
	s_mov_b32 s7, 0x3febb67a
	;; [unrolled: 1-line block ×3, first 2 shown]
	v_mul_u32_u24_e32 v22, 60, v22
	v_add_lshl_u32 v22, v22, v23, 4
	s_mov_b32 s3, 0x8889
	s_waitcnt lgkmcnt(7)
	v_mul_f64 v[32:33], v[2:3], v[72:73]
	v_mul_f64 v[34:35], v[0:1], v[72:73]
	s_waitcnt lgkmcnt(6)
	v_mul_f64 v[36:37], v[6:7], v[68:69]
	v_mul_f64 v[38:39], v[4:5], v[68:69]
	v_fma_f64 v[54:55], v[0:1], v[70:71], -v[32:33]
	v_fma_f64 v[118:119], v[2:3], v[70:71], v[34:35]
	s_waitcnt lgkmcnt(5)
	v_mul_f64 v[0:1], v[10:11], v[60:61]
	v_mul_f64 v[2:3], v[8:9], v[60:61]
	v_fma_f64 v[120:121], v[4:5], v[66:67], -v[36:37]
	v_fma_f64 v[124:125], v[6:7], v[66:67], v[38:39]
	s_waitcnt lgkmcnt(4)
	v_mul_f64 v[4:5], v[12:13], v[48:49]
	s_waitcnt lgkmcnt(3)
	v_mul_f64 v[6:7], v[18:19], v[64:65]
	v_mul_f64 v[32:33], v[14:15], v[48:49]
	;; [unrolled: 1-line block ×3, first 2 shown]
	v_fma_f64 v[8:9], v[8:9], v[58:59], -v[0:1]
	v_fma_f64 v[10:11], v[10:11], v[58:59], v[2:3]
	ds_read_b128 v[0:3], v20 offset:32256
	s_waitcnt vmcnt(31)
	buffer_store_dword v78, off, s[48:51], 0 offset:568 ; 4-byte Folded Spill
	s_nop 0
	buffer_store_dword v79, off, s[48:51], 0 offset:572 ; 4-byte Folded Spill
	buffer_store_dword v80, off, s[48:51], 0 offset:576 ; 4-byte Folded Spill
	;; [unrolled: 1-line block ×3, first 2 shown]
	v_fma_f64 v[14:15], v[14:15], v[46:47], v[4:5]
	v_fma_f64 v[16:17], v[16:17], v[62:63], -v[6:7]
	s_waitcnt lgkmcnt(2)
	v_mul_f64 v[4:5], v[30:31], v[84:85]
	v_mul_f64 v[6:7], v[28:29], v[84:85]
	s_waitcnt vmcnt(34)
	buffer_store_dword v74, off, s[48:51], 0 offset:552 ; 4-byte Folded Spill
	s_nop 0
	buffer_store_dword v75, off, s[48:51], 0 offset:556 ; 4-byte Folded Spill
	buffer_store_dword v76, off, s[48:51], 0 offset:560 ; 4-byte Folded Spill
	buffer_store_dword v77, off, s[48:51], 0 offset:564 ; 4-byte Folded Spill
	v_fma_f64 v[18:19], v[18:19], v[62:63], v[34:35]
	v_mul_f64 v[36:37], v[24:25], v[88:89]
	v_fma_f64 v[12:13], v[12:13], v[46:47], -v[32:33]
	v_mul_f64 v[32:33], v[26:27], v[88:89]
	v_fma_f64 v[34:35], v[28:29], v[82:83], -v[4:5]
	v_fma_f64 v[38:39], v[30:31], v[82:83], v[6:7]
	ds_read_b128 v[4:7], v20 offset:39936
	s_waitcnt vmcnt(37)
	buffer_store_dword v90, off, s[48:51], 0 offset:536 ; 4-byte Folded Spill
	s_nop 0
	buffer_store_dword v91, off, s[48:51], 0 offset:540 ; 4-byte Folded Spill
	buffer_store_dword v92, off, s[48:51], 0 offset:544 ; 4-byte Folded Spill
	;; [unrolled: 1-line block ×3, first 2 shown]
	v_fma_f64 v[36:37], v[26:27], v[86:87], v[36:37]
	v_fma_f64 v[32:33], v[24:25], v[86:87], -v[32:33]
	s_waitcnt lgkmcnt(2)
	v_mul_f64 v[26:27], v[42:43], v[80:81]
	v_mul_f64 v[24:25], v[44:45], v[80:81]
	s_waitcnt lgkmcnt(1)
	v_mul_f64 v[28:29], v[2:3], v[76:77]
	v_mul_f64 v[30:31], v[0:1], v[76:77]
	v_fma_f64 v[40:41], v[44:45], v[78:79], v[26:27]
	v_fma_f64 v[42:43], v[42:43], v[78:79], -v[24:25]
	v_fma_f64 v[44:45], v[0:1], v[74:75], -v[28:29]
	v_fma_f64 v[46:47], v[2:3], v[74:75], v[30:31]
	s_waitcnt lgkmcnt(0)
	v_mul_f64 v[0:1], v[6:7], v[92:93]
	v_mul_f64 v[2:3], v[4:5], v[92:93]
	v_fma_f64 v[50:51], v[4:5], v[90:91], -v[0:1]
	v_fma_f64 v[48:49], v[6:7], v[90:91], v[2:3]
	ds_read_b128 v[0:3], v20 offset:10752
	s_waitcnt vmcnt(40)
	buffer_store_dword v94, off, s[48:51], 0 offset:664 ; 4-byte Folded Spill
	s_nop 0
	buffer_store_dword v95, off, s[48:51], 0 offset:668 ; 4-byte Folded Spill
	buffer_store_dword v96, off, s[48:51], 0 offset:672 ; 4-byte Folded Spill
	;; [unrolled: 1-line block ×3, first 2 shown]
	global_load_dwordx4 v[24:27], v[52:53], off offset:16
	s_waitcnt vmcnt(0)
	buffer_store_dword v24, off, s[48:51], 0 offset:696 ; 4-byte Folded Spill
	s_nop 0
	buffer_store_dword v25, off, s[48:51], 0 offset:700 ; 4-byte Folded Spill
	buffer_store_dword v26, off, s[48:51], 0 offset:704 ; 4-byte Folded Spill
	;; [unrolled: 1-line block ×3, first 2 shown]
	s_waitcnt lgkmcnt(0)
	v_mul_f64 v[4:5], v[2:3], v[96:97]
	v_fma_f64 v[98:99], v[0:1], v[94:95], -v[4:5]
	v_mul_f64 v[0:1], v[0:1], v[96:97]
	v_fma_f64 v[100:101], v[2:3], v[94:95], v[0:1]
	ds_read_b128 v[0:3], v20 offset:18432
	s_waitcnt lgkmcnt(0)
	v_mul_f64 v[4:5], v[2:3], v[26:27]
	v_fma_f64 v[102:103], v[0:1], v[24:25], -v[4:5]
	v_mul_f64 v[0:1], v[0:1], v[26:27]
	v_fma_f64 v[104:105], v[2:3], v[24:25], v[0:1]
	global_load_dwordx4 v[24:27], v[52:53], off offset:32
	s_waitcnt vmcnt(0)
	buffer_store_dword v24, off, s[48:51], 0 offset:728 ; 4-byte Folded Spill
	s_nop 0
	buffer_store_dword v25, off, s[48:51], 0 offset:732 ; 4-byte Folded Spill
	buffer_store_dword v26, off, s[48:51], 0 offset:736 ; 4-byte Folded Spill
	buffer_store_dword v27, off, s[48:51], 0 offset:740 ; 4-byte Folded Spill
	ds_read_b128 v[0:3], v20 offset:26112
	s_waitcnt lgkmcnt(0)
	v_mul_f64 v[4:5], v[2:3], v[26:27]
	v_fma_f64 v[108:109], v[0:1], v[24:25], -v[4:5]
	v_mul_f64 v[0:1], v[0:1], v[26:27]
	v_fma_f64 v[106:107], v[2:3], v[24:25], v[0:1]
	global_load_dwordx4 v[24:27], v[52:53], off offset:48
	s_waitcnt vmcnt(0)
	buffer_store_dword v24, off, s[48:51], 0 offset:744 ; 4-byte Folded Spill
	s_nop 0
	buffer_store_dword v25, off, s[48:51], 0 offset:748 ; 4-byte Folded Spill
	buffer_store_dword v26, off, s[48:51], 0 offset:752 ; 4-byte Folded Spill
	buffer_store_dword v27, off, s[48:51], 0 offset:756 ; 4-byte Folded Spill
	;; [unrolled: 13-line block ×3, first 2 shown]
	ds_read_b128 v[0:3], v20 offset:41472
	v_add_f64 v[52:53], v[120:121], -v[12:13]
	s_waitcnt lgkmcnt(0)
	v_mul_f64 v[4:5], v[2:3], v[26:27]
	v_fma_f64 v[116:117], v[0:1], v[24:25], -v[4:5]
	v_mul_f64 v[0:1], v[0:1], v[26:27]
	v_fma_f64 v[114:115], v[2:3], v[24:25], v[0:1]
	v_mul_u32_u24_sdwa v0, v128, s0 dst_sel:DWORD dst_unused:UNUSED_PAD src0_sel:WORD_0 src1_sel:DWORD
	v_lshrrev_b32_e32 v135, 19, v0
	v_mul_lo_u16_e32 v0, 10, v135
	v_sub_u16_e32 v136, v128, v0
	v_mul_lo_u16_e32 v0, 0x50, v136
	v_add_co_u32_e64 v4, s[0:1], s2, v0
	v_addc_co_u32_e64 v5, s[0:1], 0, v127, s[0:1]
	global_load_dwordx4 v[24:27], v[4:5], off
	ds_read_b128 v[0:3], v20 offset:12288
	s_waitcnt vmcnt(0) lgkmcnt(0)
	v_mul_f64 v[6:7], v[2:3], v[26:27]
	v_fma_f64 v[78:79], v[0:1], v[24:25], -v[6:7]
	buffer_store_dword v24, off, s[48:51], 0 offset:780 ; 4-byte Folded Spill
	s_nop 0
	buffer_store_dword v25, off, s[48:51], 0 offset:784 ; 4-byte Folded Spill
	buffer_store_dword v26, off, s[48:51], 0 offset:788 ; 4-byte Folded Spill
	;; [unrolled: 1-line block ×3, first 2 shown]
	v_mul_f64 v[0:1], v[0:1], v[26:27]
	v_fma_f64 v[80:81], v[2:3], v[24:25], v[0:1]
	global_load_dwordx4 v[24:27], v[4:5], off offset:16
	s_waitcnt vmcnt(0)
	buffer_store_dword v24, off, s[48:51], 0 offset:796 ; 4-byte Folded Spill
	s_nop 0
	buffer_store_dword v25, off, s[48:51], 0 offset:800 ; 4-byte Folded Spill
	buffer_store_dword v26, off, s[48:51], 0 offset:804 ; 4-byte Folded Spill
	buffer_store_dword v27, off, s[48:51], 0 offset:808 ; 4-byte Folded Spill
	ds_read_b128 v[0:3], v20 offset:19968
	s_waitcnt lgkmcnt(0)
	v_mul_f64 v[6:7], v[2:3], v[26:27]
	v_fma_f64 v[82:83], v[0:1], v[24:25], -v[6:7]
	v_mul_f64 v[0:1], v[0:1], v[26:27]
	v_fma_f64 v[84:85], v[2:3], v[24:25], v[0:1]
	global_load_dwordx4 v[24:27], v[4:5], off offset:32
	s_waitcnt vmcnt(0)
	buffer_store_dword v24, off, s[48:51], 0 offset:812 ; 4-byte Folded Spill
	s_nop 0
	buffer_store_dword v25, off, s[48:51], 0 offset:816 ; 4-byte Folded Spill
	buffer_store_dword v26, off, s[48:51], 0 offset:820 ; 4-byte Folded Spill
	buffer_store_dword v27, off, s[48:51], 0 offset:824 ; 4-byte Folded Spill
	ds_read_b128 v[0:3], v20 offset:27648
	s_waitcnt lgkmcnt(0)
	v_mul_f64 v[6:7], v[2:3], v[26:27]
	v_fma_f64 v[88:89], v[0:1], v[24:25], -v[6:7]
	v_mul_f64 v[0:1], v[0:1], v[26:27]
	v_fma_f64 v[86:87], v[2:3], v[24:25], v[0:1]
	global_load_dwordx4 v[24:27], v[4:5], off offset:48
	s_waitcnt vmcnt(0)
	buffer_store_dword v24, off, s[48:51], 0 offset:828 ; 4-byte Folded Spill
	s_nop 0
	buffer_store_dword v25, off, s[48:51], 0 offset:832 ; 4-byte Folded Spill
	buffer_store_dword v26, off, s[48:51], 0 offset:836 ; 4-byte Folded Spill
	buffer_store_dword v27, off, s[48:51], 0 offset:840 ; 4-byte Folded Spill
	ds_read_b128 v[0:3], v20 offset:35328
	s_waitcnt lgkmcnt(0)
	v_mul_f64 v[6:7], v[2:3], v[26:27]
	v_fma_f64 v[90:91], v[0:1], v[24:25], -v[6:7]
	v_mul_f64 v[0:1], v[0:1], v[26:27]
	v_fma_f64 v[92:93], v[2:3], v[24:25], v[0:1]
	global_load_dwordx4 v[24:27], v[4:5], off offset:64
	ds_read_b128 v[0:3], v20 offset:43008
	s_waitcnt vmcnt(0) lgkmcnt(0)
	v_mul_f64 v[4:5], v[2:3], v[26:27]
	v_fma_f64 v[96:97], v[0:1], v[24:25], -v[4:5]
	buffer_store_dword v24, off, s[48:51], 0 offset:908 ; 4-byte Folded Spill
	s_nop 0
	buffer_store_dword v25, off, s[48:51], 0 offset:912 ; 4-byte Folded Spill
	buffer_store_dword v26, off, s[48:51], 0 offset:916 ; 4-byte Folded Spill
	;; [unrolled: 1-line block ×3, first 2 shown]
	v_mul_f64 v[0:1], v[0:1], v[26:27]
	v_fma_f64 v[94:95], v[2:3], v[24:25], v[0:1]
	v_mul_u32_u24_e32 v0, 0xcccd, v172
	v_lshrrev_b32_e32 v137, 19, v0
	v_mul_lo_u16_e32 v0, 10, v137
	v_sub_u16_e32 v138, v172, v0
	v_mul_lo_u16_e32 v0, 0x50, v138
	v_add_co_u32_e64 v4, s[0:1], s2, v0
	v_addc_co_u32_e64 v5, s[0:1], 0, v127, s[0:1]
	global_load_dwordx4 v[24:27], v[4:5], off
	ds_read_b128 v[0:3], v20 offset:13824
	v_cmp_gt_u16_e64 s[0:1], 60, v170
	s_waitcnt vmcnt(0) lgkmcnt(0)
	v_mul_f64 v[6:7], v[2:3], v[26:27]
	v_fma_f64 v[58:59], v[0:1], v[24:25], -v[6:7]
	buffer_store_dword v24, off, s[48:51], 0 offset:944 ; 4-byte Folded Spill
	s_nop 0
	buffer_store_dword v25, off, s[48:51], 0 offset:948 ; 4-byte Folded Spill
	buffer_store_dword v26, off, s[48:51], 0 offset:952 ; 4-byte Folded Spill
	;; [unrolled: 1-line block ×3, first 2 shown]
	v_mul_f64 v[0:1], v[0:1], v[26:27]
	v_fma_f64 v[60:61], v[2:3], v[24:25], v[0:1]
	global_load_dwordx4 v[24:27], v[4:5], off offset:16
	s_waitcnt vmcnt(0)
	buffer_store_dword v24, off, s[48:51], 0 offset:960 ; 4-byte Folded Spill
	s_nop 0
	buffer_store_dword v25, off, s[48:51], 0 offset:964 ; 4-byte Folded Spill
	buffer_store_dword v26, off, s[48:51], 0 offset:968 ; 4-byte Folded Spill
	buffer_store_dword v27, off, s[48:51], 0 offset:972 ; 4-byte Folded Spill
	ds_read_b128 v[0:3], v20 offset:21504
	s_waitcnt lgkmcnt(0)
	v_mul_f64 v[6:7], v[2:3], v[26:27]
	v_fma_f64 v[62:63], v[0:1], v[24:25], -v[6:7]
	v_mul_f64 v[0:1], v[0:1], v[26:27]
	v_fma_f64 v[64:65], v[2:3], v[24:25], v[0:1]
	global_load_dwordx4 v[24:27], v[4:5], off offset:32
	s_waitcnt vmcnt(0)
	buffer_store_dword v24, off, s[48:51], 0 offset:976 ; 4-byte Folded Spill
	s_nop 0
	buffer_store_dword v25, off, s[48:51], 0 offset:980 ; 4-byte Folded Spill
	buffer_store_dword v26, off, s[48:51], 0 offset:984 ; 4-byte Folded Spill
	buffer_store_dword v27, off, s[48:51], 0 offset:988 ; 4-byte Folded Spill
	ds_read_b128 v[0:3], v20 offset:29184
	s_waitcnt lgkmcnt(0)
	v_mul_f64 v[6:7], v[2:3], v[26:27]
	v_fma_f64 v[68:69], v[0:1], v[24:25], -v[6:7]
	;; [unrolled: 13-line block ×3, first 2 shown]
	v_mul_f64 v[0:1], v[0:1], v[26:27]
	v_fma_f64 v[72:73], v[2:3], v[24:25], v[0:1]
	global_load_dwordx4 v[24:27], v[4:5], off offset:64
	s_waitcnt vmcnt(0)
	buffer_store_dword v24, off, s[48:51], 0 offset:1008 ; 4-byte Folded Spill
	s_nop 0
	buffer_store_dword v25, off, s[48:51], 0 offset:1012 ; 4-byte Folded Spill
	buffer_store_dword v26, off, s[48:51], 0 offset:1016 ; 4-byte Folded Spill
	;; [unrolled: 1-line block ×3, first 2 shown]
	ds_read_b128 v[0:3], v20 offset:44544
	buffer_store_dword v22, off, s[48:51], 0 offset:1472 ; 4-byte Folded Spill
	s_waitcnt lgkmcnt(0)
	v_mul_f64 v[4:5], v[2:3], v[26:27]
	v_fma_f64 v[76:77], v[0:1], v[24:25], -v[4:5]
	v_mul_f64 v[0:1], v[0:1], v[26:27]
	v_add_f64 v[4:5], v[120:121], v[12:13]
	v_fma_f64 v[74:75], v[2:3], v[24:25], v[0:1]
	ds_read_b128 v[0:3], v20
	s_waitcnt lgkmcnt(0)
	v_fma_f64 v[24:25], v[4:5], -0.5, v[0:1]
	v_add_f64 v[4:5], v[124:125], v[14:15]
	v_add_f64 v[0:1], v[0:1], v[120:121]
	v_fma_f64 v[26:27], v[4:5], -0.5, v[2:3]
	v_add_f64 v[4:5], v[0:1], v[12:13]
	v_add_f64 v[0:1], v[54:55], v[8:9]
	;; [unrolled: 1-line block ×3, first 2 shown]
	v_fma_f64 v[120:121], v[52:53], s[12:13], v[26:27]
	v_fma_f64 v[26:27], v[52:53], s[6:7], v[26:27]
	v_add_f64 v[28:29], v[0:1], v[16:17]
	v_add_f64 v[0:1], v[118:119], v[10:11]
	;; [unrolled: 1-line block ×5, first 2 shown]
	v_add_f64 v[4:5], v[4:5], -v[28:29]
	v_add_f64 v[28:29], v[124:125], -v[14:15]
	v_add_f64 v[14:15], v[10:11], v[18:19]
	v_add_f64 v[18:19], v[10:11], -v[18:19]
	v_add_f64 v[2:3], v[6:7], v[30:31]
	v_add_f64 v[6:7], v[6:7], -v[30:31]
	v_fma_f64 v[30:31], v[14:15], -0.5, v[118:119]
	v_add_f64 v[14:15], v[8:9], v[16:17]
	v_add_f64 v[16:17], v[8:9], -v[16:17]
	v_fma_f64 v[54:55], v[14:15], -0.5, v[54:55]
	v_fma_f64 v[8:9], v[16:17], s[12:13], v[30:31]
	v_fma_f64 v[16:17], v[16:17], s[6:7], v[30:31]
	;; [unrolled: 1-line block ×3, first 2 shown]
	v_mul_f64 v[12:13], v[8:9], s[6:7]
	v_fma_f64 v[18:19], v[18:19], s[12:13], v[54:55]
	v_fma_f64 v[118:119], v[10:11], 0.5, v[12:13]
	v_mul_f64 v[10:11], v[10:11], s[12:13]
	v_fma_f64 v[10:11], v[8:9], 0.5, v[10:11]
	v_fma_f64 v[8:9], v[28:29], s[6:7], v[24:25]
	v_fma_f64 v[24:25], v[28:29], s[12:13], v[24:25]
	v_mul_f64 v[28:29], v[18:19], -0.5
	v_add_f64 v[14:15], v[120:121], v[10:11]
	v_add_f64 v[12:13], v[8:9], v[118:119]
	v_add_f64 v[8:9], v[8:9], -v[118:119]
	v_fma_f64 v[28:29], v[16:17], s[6:7], v[28:29]
	v_mul_f64 v[16:17], v[16:17], -0.5
	v_add_f64 v[10:11], v[120:121], -v[10:11]
	v_add_f64 v[118:119], v[24:25], v[28:29]
	v_fma_f64 v[18:19], v[18:19], s[12:13], v[16:17]
	v_add_f64 v[16:17], v[24:25], -v[28:29]
	v_add_f64 v[28:29], v[34:35], v[44:45]
	v_add_f64 v[120:121], v[26:27], v[18:19]
	v_add_f64 v[18:19], v[26:27], -v[18:19]
	ds_read_b128 v[24:27], v20 offset:1536
	s_waitcnt lgkmcnt(0)
	v_fma_f64 v[52:53], v[28:29], -0.5, v[24:25]
	v_add_f64 v[28:29], v[38:39], v[46:47]
	v_add_f64 v[24:25], v[24:25], v[34:35]
	v_fma_f64 v[54:55], v[28:29], -0.5, v[26:27]
	v_add_f64 v[28:29], v[24:25], v[44:45]
	v_add_f64 v[24:25], v[32:33], v[42:43]
	;; [unrolled: 1-line block ×3, first 2 shown]
	v_add_f64 v[44:45], v[34:35], -v[44:45]
	v_add_f64 v[124:125], v[24:25], v[50:51]
	v_add_f64 v[24:25], v[36:37], v[40:41]
	;; [unrolled: 1-line block ×3, first 2 shown]
	v_add_f64 v[46:47], v[38:39], -v[46:47]
	v_add_f64 v[139:140], v[24:25], v[48:49]
	v_add_f64 v[24:25], v[28:29], v[124:125]
	v_add_f64 v[28:29], v[28:29], -v[124:125]
	v_add_f64 v[124:125], v[40:41], v[48:49]
	v_add_f64 v[40:41], v[40:41], -v[48:49]
	;; [unrolled: 2-line block ×3, first 2 shown]
	v_fma_f64 v[139:140], v[44:45], s[12:13], v[54:55]
	v_fma_f64 v[124:125], v[124:125], -0.5, v[36:37]
	v_add_f64 v[36:37], v[42:43], v[50:51]
	v_add_f64 v[42:43], v[42:43], -v[50:51]
	v_fma_f64 v[50:51], v[36:37], -0.5, v[32:33]
	v_fma_f64 v[32:33], v[42:43], s[12:13], v[124:125]
	v_fma_f64 v[42:43], v[42:43], s[6:7], v[124:125]
	;; [unrolled: 1-line block ×3, first 2 shown]
	v_mul_f64 v[36:37], v[32:33], s[6:7]
	v_fma_f64 v[40:41], v[40:41], s[12:13], v[50:51]
	v_fma_f64 v[50:51], v[44:45], s[6:7], v[54:55]
	v_fma_f64 v[48:49], v[34:35], 0.5, v[36:37]
	v_mul_f64 v[34:35], v[34:35], s[12:13]
	v_mul_f64 v[44:45], v[40:41], -0.5
	v_fma_f64 v[34:35], v[32:33], 0.5, v[34:35]
	v_fma_f64 v[32:33], v[46:47], s[6:7], v[52:53]
	v_add_f64 v[38:39], v[139:140], v[34:35]
	v_add_f64 v[36:37], v[32:33], v[48:49]
	v_add_f64 v[32:33], v[32:33], -v[48:49]
	v_fma_f64 v[48:49], v[46:47], s[12:13], v[52:53]
	v_fma_f64 v[52:53], v[42:43], s[6:7], v[44:45]
	v_mul_f64 v[42:43], v[42:43], -0.5
	v_add_f64 v[34:35], v[139:140], -v[34:35]
	v_add_f64 v[44:45], v[48:49], v[52:53]
	v_fma_f64 v[42:43], v[40:41], s[12:13], v[42:43]
	v_add_f64 v[40:41], v[48:49], -v[52:53]
	v_add_f64 v[52:53], v[102:103], v[110:111]
	v_add_f64 v[46:47], v[50:51], v[42:43]
	v_add_f64 v[42:43], v[50:51], -v[42:43]
	ds_read_b128 v[48:51], v20 offset:3072
	s_waitcnt lgkmcnt(0)
	v_fma_f64 v[124:125], v[52:53], -0.5, v[48:49]
	v_add_f64 v[52:53], v[104:105], v[112:113]
	v_add_f64 v[48:49], v[48:49], v[102:103]
	v_fma_f64 v[139:140], v[52:53], -0.5, v[50:51]
	v_add_f64 v[52:53], v[48:49], v[110:111]
	v_add_f64 v[48:49], v[98:99], v[108:109]
	;; [unrolled: 1-line block ×3, first 2 shown]
	v_add_f64 v[110:111], v[102:103], -v[110:111]
	v_add_f64 v[141:142], v[48:49], v[116:117]
	v_add_f64 v[48:49], v[100:101], v[106:107]
	;; [unrolled: 1-line block ×3, first 2 shown]
	v_add_f64 v[112:113], v[104:105], -v[112:113]
	v_add_f64 v[143:144], v[48:49], v[114:115]
	v_add_f64 v[48:49], v[52:53], v[141:142]
	v_add_f64 v[52:53], v[52:53], -v[141:142]
	v_add_f64 v[141:142], v[106:107], v[114:115]
	v_add_f64 v[106:107], v[106:107], -v[114:115]
	v_fma_f64 v[114:115], v[112:113], s[6:7], v[124:125]
	v_fma_f64 v[112:113], v[112:113], s[12:13], v[124:125]
	v_add_f64 v[124:125], v[82:83], v[90:91]
	v_add_f64 v[50:51], v[54:55], v[143:144]
	v_add_f64 v[54:55], v[54:55], -v[143:144]
	v_fma_f64 v[143:144], v[110:111], s[12:13], v[139:140]
	v_fma_f64 v[141:142], v[141:142], -0.5, v[100:101]
	v_add_f64 v[100:101], v[108:109], v[116:117]
	v_add_f64 v[108:109], v[108:109], -v[116:117]
	v_fma_f64 v[116:117], v[100:101], -0.5, v[98:99]
	v_fma_f64 v[98:99], v[108:109], s[12:13], v[141:142]
	v_fma_f64 v[108:109], v[108:109], s[6:7], v[141:142]
	;; [unrolled: 1-line block ×3, first 2 shown]
	v_mul_f64 v[102:103], v[98:99], s[6:7]
	v_fma_f64 v[106:107], v[106:107], s[12:13], v[116:117]
	v_fma_f64 v[102:103], v[100:101], 0.5, v[102:103]
	v_mul_f64 v[100:101], v[100:101], s[12:13]
	v_fma_f64 v[104:105], v[98:99], 0.5, v[100:101]
	v_add_f64 v[98:99], v[114:115], v[102:103]
	v_add_f64 v[102:103], v[114:115], -v[102:103]
	v_fma_f64 v[114:115], v[110:111], s[6:7], v[139:140]
	v_mul_f64 v[110:111], v[106:107], -0.5
	v_add_f64 v[139:140], v[84:85], v[92:93]
	v_add_f64 v[100:101], v[143:144], v[104:105]
	v_add_f64 v[104:105], v[143:144], -v[104:105]
	v_fma_f64 v[110:111], v[108:109], s[6:7], v[110:111]
	v_mul_f64 v[108:109], v[108:109], -0.5
	v_fma_f64 v[116:117], v[106:107], s[12:13], v[108:109]
	v_add_f64 v[106:107], v[112:113], v[110:111]
	v_add_f64 v[110:111], v[112:113], -v[110:111]
	v_add_f64 v[108:109], v[114:115], v[116:117]
	v_add_f64 v[112:113], v[114:115], -v[116:117]
	ds_read_b128 v[114:117], v20 offset:4608
	s_waitcnt lgkmcnt(0)
	v_fma_f64 v[124:125], v[124:125], -0.5, v[114:115]
	v_add_f64 v[114:115], v[114:115], v[82:83]
	v_fma_f64 v[143:144], v[139:140], -0.5, v[116:117]
	v_add_f64 v[116:117], v[116:117], v[84:85]
	v_add_f64 v[139:140], v[114:115], v[90:91]
	;; [unrolled: 1-line block ×4, first 2 shown]
	v_add_f64 v[92:93], v[84:85], -v[92:93]
	v_add_f64 v[90:91], v[82:83], -v[90:91]
	v_add_f64 v[145:146], v[114:115], v[96:97]
	v_add_f64 v[114:115], v[80:81], v[86:87]
	v_add_f64 v[147:148], v[114:115], v[94:95]
	v_add_f64 v[114:115], v[139:140], v[145:146]
	v_add_f64 v[139:140], v[139:140], -v[145:146]
	v_add_f64 v[145:146], v[86:87], v[94:95]
	v_add_f64 v[86:87], v[86:87], -v[94:95]
	v_fma_f64 v[94:95], v[92:93], s[6:7], v[124:125]
	v_fma_f64 v[92:93], v[92:93], s[12:13], v[124:125]
	v_add_f64 v[124:125], v[62:63], v[70:71]
	v_add_f64 v[116:117], v[141:142], v[147:148]
	v_add_f64 v[141:142], v[141:142], -v[147:148]
	v_fma_f64 v[147:148], v[90:91], s[12:13], v[143:144]
	v_fma_f64 v[145:146], v[145:146], -0.5, v[80:81]
	v_add_f64 v[80:81], v[88:89], v[96:97]
	v_add_f64 v[88:89], v[88:89], -v[96:97]
	v_fma_f64 v[96:97], v[80:81], -0.5, v[78:79]
	v_fma_f64 v[78:79], v[88:89], s[12:13], v[145:146]
	v_fma_f64 v[88:89], v[88:89], s[6:7], v[145:146]
	;; [unrolled: 1-line block ×3, first 2 shown]
	v_mul_f64 v[82:83], v[78:79], s[6:7]
	v_fma_f64 v[86:87], v[86:87], s[12:13], v[96:97]
	v_fma_f64 v[82:83], v[80:81], 0.5, v[82:83]
	v_mul_f64 v[80:81], v[80:81], s[12:13]
	v_fma_f64 v[84:85], v[78:79], 0.5, v[80:81]
	v_add_f64 v[78:79], v[94:95], v[82:83]
	v_add_f64 v[82:83], v[94:95], -v[82:83]
	v_fma_f64 v[94:95], v[90:91], s[6:7], v[143:144]
	v_mul_f64 v[90:91], v[86:87], -0.5
	v_add_f64 v[143:144], v[64:65], v[72:73]
	v_add_f64 v[80:81], v[147:148], v[84:85]
	v_add_f64 v[84:85], v[147:148], -v[84:85]
	v_fma_f64 v[90:91], v[88:89], s[6:7], v[90:91]
	v_mul_f64 v[88:89], v[88:89], -0.5
	v_fma_f64 v[96:97], v[86:87], s[12:13], v[88:89]
	v_add_f64 v[86:87], v[92:93], v[90:91]
	v_add_f64 v[90:91], v[92:93], -v[90:91]
	v_add_f64 v[88:89], v[94:95], v[96:97]
	v_add_f64 v[92:93], v[94:95], -v[96:97]
	ds_read_b128 v[94:97], v20 offset:6144
	s_waitcnt vmcnt(0) lgkmcnt(0)
	s_barrier
	ds_write_b128 v22, v[0:3]
	ds_write_b128 v22, v[12:15] offset:160
	ds_write_b128 v22, v[118:121] offset:320
	;; [unrolled: 1-line block ×5, first 2 shown]
	v_fma_f64 v[124:125], v[124:125], -0.5, v[94:95]
	v_add_f64 v[94:95], v[94:95], v[62:63]
	v_fma_f64 v[147:148], v[143:144], -0.5, v[96:97]
	v_add_f64 v[96:97], v[96:97], v[64:65]
	v_mul_u32_u24_e32 v0, 60, v131
	v_add_lshl_u32 v0, v0, v132, 4
	buffer_store_dword v0, off, s[48:51], 0 offset:1336 ; 4-byte Folded Spill
	ds_write_b128 v0, v[24:27]
	ds_write_b128 v0, v[36:39] offset:160
	ds_write_b128 v0, v[44:47] offset:320
	;; [unrolled: 1-line block ×5, first 2 shown]
	v_mad_legacy_u16 v0, v133, 60, v134
	v_add_f64 v[143:144], v[94:95], v[70:71]
	v_add_f64 v[94:95], v[58:59], v[68:69]
	;; [unrolled: 1-line block ×3, first 2 shown]
	v_add_f64 v[72:73], v[64:65], -v[72:73]
	v_add_f64 v[70:71], v[62:63], -v[70:71]
	v_lshlrev_b32_e32 v0, 4, v0
	buffer_store_dword v0, off, s[48:51], 0 offset:1136 ; 4-byte Folded Spill
	ds_write_b128 v0, v[48:51]
	ds_write_b128 v0, v[98:101] offset:160
	ds_write_b128 v0, v[106:109] offset:320
	;; [unrolled: 1-line block ×5, first 2 shown]
	v_mad_legacy_u16 v0, v135, 60, v136
	v_add_f64 v[149:150], v[94:95], v[76:77]
	v_add_f64 v[94:95], v[60:61], v[66:67]
	v_lshlrev_b32_e32 v0, 4, v0
	buffer_store_dword v0, off, s[48:51], 0 offset:940 ; 4-byte Folded Spill
	ds_write_b128 v0, v[114:117]
	ds_write_b128 v0, v[78:81] offset:160
	ds_write_b128 v0, v[86:89] offset:320
	ds_write_b128 v0, v[139:142] offset:480
	ds_write_b128 v0, v[82:85] offset:640
	ds_write_b128 v0, v[90:93] offset:800
	v_mad_legacy_u16 v0, v137, 60, v138
	v_lshlrev_b32_e32 v0, 4, v0
	buffer_store_dword v0, off, s[48:51], 0 offset:776 ; 4-byte Folded Spill
	v_add_f64 v[151:152], v[94:95], v[74:75]
	v_add_f64 v[94:95], v[143:144], v[149:150]
	v_add_f64 v[143:144], v[143:144], -v[149:150]
	v_add_f64 v[149:150], v[66:67], v[74:75]
	v_add_f64 v[66:67], v[66:67], -v[74:75]
	v_fma_f64 v[74:75], v[72:73], s[6:7], v[124:125]
	v_fma_f64 v[72:73], v[72:73], s[12:13], v[124:125]
	v_add_f64 v[96:97], v[145:146], v[151:152]
	v_add_f64 v[145:146], v[145:146], -v[151:152]
	v_fma_f64 v[151:152], v[70:71], s[12:13], v[147:148]
	v_fma_f64 v[149:150], v[149:150], -0.5, v[60:61]
	v_add_f64 v[60:61], v[68:69], v[76:77]
	v_add_f64 v[68:69], v[68:69], -v[76:77]
	v_fma_f64 v[76:77], v[60:61], -0.5, v[58:59]
	v_fma_f64 v[58:59], v[68:69], s[12:13], v[149:150]
	v_fma_f64 v[68:69], v[68:69], s[6:7], v[149:150]
	;; [unrolled: 1-line block ×3, first 2 shown]
	v_mul_f64 v[62:63], v[58:59], s[6:7]
	v_fma_f64 v[66:67], v[66:67], s[12:13], v[76:77]
	v_fma_f64 v[62:63], v[60:61], 0.5, v[62:63]
	v_mul_f64 v[60:61], v[60:61], s[12:13]
	v_fma_f64 v[64:65], v[58:59], 0.5, v[60:61]
	v_add_f64 v[58:59], v[74:75], v[62:63]
	v_add_f64 v[62:63], v[74:75], -v[62:63]
	v_fma_f64 v[74:75], v[70:71], s[6:7], v[147:148]
	v_mul_f64 v[70:71], v[66:67], -0.5
	v_add_f64 v[60:61], v[151:152], v[64:65]
	v_add_f64 v[64:65], v[151:152], -v[64:65]
	v_fma_f64 v[70:71], v[68:69], s[6:7], v[70:71]
	v_mul_f64 v[68:69], v[68:69], -0.5
	v_fma_f64 v[76:77], v[66:67], s[12:13], v[68:69]
	v_add_f64 v[66:67], v[72:73], v[70:71]
	v_add_f64 v[70:71], v[72:73], -v[70:71]
	v_add_f64 v[68:69], v[74:75], v[76:77]
	v_add_f64 v[72:73], v[74:75], -v[76:77]
	ds_write_b128 v0, v[94:97]
	ds_write_b128 v0, v[58:61] offset:160
	ds_write_b128 v0, v[66:69] offset:320
	;; [unrolled: 1-line block ×5, first 2 shown]
	v_subrev_u32_e32 v0, 60, v170
	v_cndmask_b32_e64 v120, v0, v170, s[0:1]
	v_mul_i32_i24_e32 v1, 0x50, v120
	v_mul_hi_i32_i24_e32 v0, 0x50, v120
	v_add_co_u32_e64 v4, s[0:1], s2, v1
	v_addc_co_u32_e64 v5, s[0:1], v127, v0, s[0:1]
	s_waitcnt vmcnt(0) lgkmcnt(0)
	s_barrier
	global_load_dwordx4 v[10:13], v[4:5], off offset:800
	ds_read_b128 v[0:3], v20 offset:7680
	s_movk_i32 s0, 0x89
	s_waitcnt vmcnt(0) lgkmcnt(0)
	v_mul_f64 v[6:7], v[2:3], v[12:13]
	v_fma_f64 v[8:9], v[0:1], v[10:11], -v[6:7]
	buffer_store_dword v10, off, s[48:51], 0 offset:844 ; 4-byte Folded Spill
	s_nop 0
	buffer_store_dword v11, off, s[48:51], 0 offset:848 ; 4-byte Folded Spill
	buffer_store_dword v12, off, s[48:51], 0 offset:852 ; 4-byte Folded Spill
	;; [unrolled: 1-line block ×3, first 2 shown]
	global_load_dwordx4 v[14:17], v[4:5], off offset:816
	s_waitcnt vmcnt(0)
	buffer_store_dword v14, off, s[48:51], 0 offset:860 ; 4-byte Folded Spill
	s_nop 0
	buffer_store_dword v15, off, s[48:51], 0 offset:864 ; 4-byte Folded Spill
	buffer_store_dword v16, off, s[48:51], 0 offset:868 ; 4-byte Folded Spill
	;; [unrolled: 1-line block ×3, first 2 shown]
	global_load_dwordx4 v[22:25], v[4:5], off offset:832
	v_mul_f64 v[0:1], v[0:1], v[12:13]
	v_fma_f64 v[10:11], v[2:3], v[10:11], v[0:1]
	ds_read_b128 v[0:3], v20 offset:15360
	s_waitcnt vmcnt(0)
	buffer_store_dword v22, off, s[48:51], 0 offset:876 ; 4-byte Folded Spill
	s_nop 0
	buffer_store_dword v23, off, s[48:51], 0 offset:880 ; 4-byte Folded Spill
	buffer_store_dword v24, off, s[48:51], 0 offset:884 ; 4-byte Folded Spill
	buffer_store_dword v25, off, s[48:51], 0 offset:888 ; 4-byte Folded Spill
	s_waitcnt lgkmcnt(0)
	v_mul_f64 v[6:7], v[2:3], v[16:17]
	v_fma_f64 v[12:13], v[0:1], v[14:15], -v[6:7]
	v_mul_f64 v[0:1], v[0:1], v[16:17]
	v_fma_f64 v[14:15], v[2:3], v[14:15], v[0:1]
	ds_read_b128 v[0:3], v20 offset:23040
	s_waitcnt lgkmcnt(0)
	v_mul_f64 v[6:7], v[2:3], v[24:25]
	v_fma_f64 v[18:19], v[0:1], v[22:23], -v[6:7]
	v_mul_f64 v[0:1], v[0:1], v[24:25]
	v_fma_f64 v[16:17], v[2:3], v[22:23], v[0:1]
	global_load_dwordx4 v[22:25], v[4:5], off offset:848
	s_waitcnt vmcnt(0)
	buffer_store_dword v22, off, s[48:51], 0 offset:924 ; 4-byte Folded Spill
	s_nop 0
	buffer_store_dword v23, off, s[48:51], 0 offset:928 ; 4-byte Folded Spill
	buffer_store_dword v24, off, s[48:51], 0 offset:932 ; 4-byte Folded Spill
	;; [unrolled: 1-line block ×3, first 2 shown]
	global_load_dwordx4 v[30:33], v[4:5], off offset:864
	ds_read_b128 v[0:3], v20 offset:30720
	s_waitcnt vmcnt(0)
	buffer_store_dword v30, off, s[48:51], 0 offset:892 ; 4-byte Folded Spill
	s_nop 0
	buffer_store_dword v31, off, s[48:51], 0 offset:896 ; 4-byte Folded Spill
	buffer_store_dword v32, off, s[48:51], 0 offset:900 ; 4-byte Folded Spill
	;; [unrolled: 1-line block ×3, first 2 shown]
	s_waitcnt lgkmcnt(0)
	v_mul_f64 v[6:7], v[2:3], v[24:25]
	v_fma_f64 v[28:29], v[0:1], v[22:23], -v[6:7]
	v_mul_f64 v[0:1], v[0:1], v[24:25]
	v_fma_f64 v[22:23], v[2:3], v[22:23], v[0:1]
	ds_read_b128 v[0:3], v20 offset:38400
	s_waitcnt lgkmcnt(0)
	v_mul_f64 v[4:5], v[2:3], v[32:33]
	v_fma_f64 v[26:27], v[0:1], v[30:31], -v[4:5]
	v_mul_f64 v[0:1], v[0:1], v[32:33]
	v_fma_f64 v[24:25], v[2:3], v[30:31], v[0:1]
	v_mul_lo_u16_sdwa v0, v130, s0 dst_sel:DWORD dst_unused:UNUSED_PAD src0_sel:BYTE_0 src1_sel:DWORD
	v_lshrrev_b16_e32 v121, 13, v0
	v_mul_lo_u16_e32 v0, 60, v121
	v_sub_u16_e32 v0, v130, v0
	v_and_b32_e32 v130, 0xff, v0
	v_mad_u64_u32 v[4:5], s[0:1], v130, s43, v[56:57]
	ds_read_b128 v[0:3], v20 offset:9216
	global_load_dwordx4 v[34:37], v[4:5], off offset:800
	s_waitcnt vmcnt(0) lgkmcnt(0)
	v_mul_f64 v[6:7], v[2:3], v[36:37]
	v_fma_f64 v[32:33], v[0:1], v[34:35], -v[6:7]
	buffer_store_dword v34, off, s[48:51], 0 offset:1024 ; 4-byte Folded Spill
	s_nop 0
	buffer_store_dword v35, off, s[48:51], 0 offset:1028 ; 4-byte Folded Spill
	buffer_store_dword v36, off, s[48:51], 0 offset:1032 ; 4-byte Folded Spill
	buffer_store_dword v37, off, s[48:51], 0 offset:1036 ; 4-byte Folded Spill
	global_load_dwordx4 v[38:41], v[4:5], off offset:816
	s_waitcnt vmcnt(0)
	buffer_store_dword v38, off, s[48:51], 0 offset:1040 ; 4-byte Folded Spill
	s_nop 0
	buffer_store_dword v39, off, s[48:51], 0 offset:1044 ; 4-byte Folded Spill
	buffer_store_dword v40, off, s[48:51], 0 offset:1048 ; 4-byte Folded Spill
	;; [unrolled: 1-line block ×3, first 2 shown]
	global_load_dwordx4 v[44:47], v[4:5], off offset:832
	v_mul_f64 v[0:1], v[0:1], v[36:37]
	v_fma_f64 v[34:35], v[2:3], v[34:35], v[0:1]
	ds_read_b128 v[0:3], v20 offset:16896
	s_waitcnt vmcnt(0)
	buffer_store_dword v44, off, s[48:51], 0 offset:1056 ; 4-byte Folded Spill
	s_nop 0
	buffer_store_dword v45, off, s[48:51], 0 offset:1060 ; 4-byte Folded Spill
	buffer_store_dword v46, off, s[48:51], 0 offset:1064 ; 4-byte Folded Spill
	;; [unrolled: 1-line block ×3, first 2 shown]
	s_waitcnt lgkmcnt(0)
	v_mul_f64 v[6:7], v[2:3], v[40:41]
	v_fma_f64 v[36:37], v[0:1], v[38:39], -v[6:7]
	v_mul_f64 v[0:1], v[0:1], v[40:41]
	v_fma_f64 v[38:39], v[2:3], v[38:39], v[0:1]
	ds_read_b128 v[0:3], v20 offset:24576
	s_waitcnt lgkmcnt(0)
	v_mul_f64 v[6:7], v[2:3], v[46:47]
	v_fma_f64 v[42:43], v[0:1], v[44:45], -v[6:7]
	v_mul_f64 v[0:1], v[0:1], v[46:47]
	global_load_dwordx4 v[46:49], v[4:5], off offset:848
	s_waitcnt vmcnt(0)
	buffer_store_dword v46, off, s[48:51], 0 offset:1072 ; 4-byte Folded Spill
	s_nop 0
	buffer_store_dword v47, off, s[48:51], 0 offset:1076 ; 4-byte Folded Spill
	buffer_store_dword v48, off, s[48:51], 0 offset:1080 ; 4-byte Folded Spill
	buffer_store_dword v49, off, s[48:51], 0 offset:1084 ; 4-byte Folded Spill
	global_load_dwordx4 v[52:55], v[4:5], off offset:864
	v_fma_f64 v[40:41], v[2:3], v[44:45], v[0:1]
	ds_read_b128 v[0:3], v20 offset:32256
	s_waitcnt lgkmcnt(0)
	v_mul_f64 v[6:7], v[2:3], v[48:49]
	v_fma_f64 v[44:45], v[0:1], v[46:47], -v[6:7]
	v_mul_f64 v[0:1], v[0:1], v[48:49]
	v_fma_f64 v[46:47], v[2:3], v[46:47], v[0:1]
	ds_read_b128 v[0:3], v20 offset:39936
	s_waitcnt vmcnt(0) lgkmcnt(0)
	v_mul_f64 v[4:5], v[2:3], v[54:55]
	v_fma_f64 v[50:51], v[0:1], v[52:53], -v[4:5]
	buffer_store_dword v52, off, s[48:51], 0 offset:1088 ; 4-byte Folded Spill
	s_nop 0
	buffer_store_dword v53, off, s[48:51], 0 offset:1092 ; 4-byte Folded Spill
	buffer_store_dword v54, off, s[48:51], 0 offset:1096 ; 4-byte Folded Spill
	;; [unrolled: 1-line block ×3, first 2 shown]
	v_mul_f64 v[0:1], v[0:1], v[54:55]
	v_fma_f64 v[48:49], v[2:3], v[52:53], v[0:1]
	v_mul_u32_u24_sdwa v0, v129, s3 dst_sel:DWORD dst_unused:UNUSED_PAD src0_sel:WORD_0 src1_sel:DWORD
	v_lshrrev_b32_e32 v131, 21, v0
	v_mul_lo_u16_e32 v0, 60, v131
	v_sub_u16_e32 v129, v129, v0
	v_mul_lo_u16_e32 v0, 0x50, v129
	v_add_co_u32_e64 v4, s[0:1], s2, v0
	v_addc_co_u32_e64 v5, s[0:1], 0, v127, s[0:1]
	global_load_dwordx4 v[52:55], v[4:5], off offset:800
	ds_read_b128 v[0:3], v20 offset:10752
	s_waitcnt vmcnt(0) lgkmcnt(0)
	v_mul_f64 v[6:7], v[2:3], v[54:55]
	v_fma_f64 v[56:57], v[0:1], v[52:53], -v[6:7]
	buffer_store_dword v52, off, s[48:51], 0 offset:1104 ; 4-byte Folded Spill
	s_nop 0
	buffer_store_dword v53, off, s[48:51], 0 offset:1108 ; 4-byte Folded Spill
	buffer_store_dword v54, off, s[48:51], 0 offset:1112 ; 4-byte Folded Spill
	;; [unrolled: 1-line block ×3, first 2 shown]
	v_mul_f64 v[0:1], v[0:1], v[54:55]
	v_fma_f64 v[58:59], v[2:3], v[52:53], v[0:1]
	global_load_dwordx4 v[52:55], v[4:5], off offset:816
	s_waitcnt vmcnt(0)
	buffer_store_dword v52, off, s[48:51], 0 offset:1120 ; 4-byte Folded Spill
	s_nop 0
	buffer_store_dword v53, off, s[48:51], 0 offset:1124 ; 4-byte Folded Spill
	buffer_store_dword v54, off, s[48:51], 0 offset:1128 ; 4-byte Folded Spill
	buffer_store_dword v55, off, s[48:51], 0 offset:1132 ; 4-byte Folded Spill
	ds_read_b128 v[0:3], v20 offset:18432
	s_waitcnt lgkmcnt(0)
	v_mul_f64 v[6:7], v[2:3], v[54:55]
	v_fma_f64 v[100:101], v[0:1], v[52:53], -v[6:7]
	v_mul_f64 v[0:1], v[0:1], v[54:55]
	v_fma_f64 v[102:103], v[2:3], v[52:53], v[0:1]
	global_load_dwordx4 v[52:55], v[4:5], off offset:832
	s_waitcnt vmcnt(0)
	buffer_store_dword v52, off, s[48:51], 0 offset:1140 ; 4-byte Folded Spill
	s_nop 0
	buffer_store_dword v53, off, s[48:51], 0 offset:1144 ; 4-byte Folded Spill
	buffer_store_dword v54, off, s[48:51], 0 offset:1148 ; 4-byte Folded Spill
	buffer_store_dword v55, off, s[48:51], 0 offset:1152 ; 4-byte Folded Spill
	ds_read_b128 v[0:3], v20 offset:26112
	s_waitcnt lgkmcnt(0)
	v_mul_f64 v[6:7], v[2:3], v[54:55]
	v_fma_f64 v[106:107], v[0:1], v[52:53], -v[6:7]
	;; [unrolled: 13-line block ×4, first 2 shown]
	v_mul_f64 v[0:1], v[0:1], v[54:55]
	v_fma_f64 v[112:113], v[2:3], v[52:53], v[0:1]
	v_mul_u32_u24_sdwa v0, v128, s3 dst_sel:DWORD dst_unused:UNUSED_PAD src0_sel:WORD_0 src1_sel:DWORD
	v_lshrrev_b32_e32 v132, 21, v0
	v_mul_lo_u16_e32 v0, 60, v132
	v_sub_u16_e32 v133, v128, v0
	v_mul_lo_u16_e32 v0, 0x50, v133
	v_add_co_u32_e64 v4, s[0:1], s2, v0
	v_addc_co_u32_e64 v5, s[0:1], 0, v127, s[0:1]
	global_load_dwordx4 v[52:55], v[4:5], off offset:800
	ds_read_b128 v[0:3], v20 offset:12288
	s_movk_i32 s3, 0xffb8
	s_waitcnt vmcnt(0) lgkmcnt(0)
	v_mul_f64 v[6:7], v[2:3], v[54:55]
	v_fma_f64 v[80:81], v[0:1], v[52:53], -v[6:7]
	buffer_store_dword v52, off, s[48:51], 0 offset:1256 ; 4-byte Folded Spill
	s_nop 0
	buffer_store_dword v53, off, s[48:51], 0 offset:1260 ; 4-byte Folded Spill
	buffer_store_dword v54, off, s[48:51], 0 offset:1264 ; 4-byte Folded Spill
	;; [unrolled: 1-line block ×3, first 2 shown]
	v_mul_f64 v[0:1], v[0:1], v[54:55]
	v_fma_f64 v[82:83], v[2:3], v[52:53], v[0:1]
	global_load_dwordx4 v[52:55], v[4:5], off offset:816
	s_waitcnt vmcnt(0)
	buffer_store_dword v52, off, s[48:51], 0 offset:1272 ; 4-byte Folded Spill
	s_nop 0
	buffer_store_dword v53, off, s[48:51], 0 offset:1276 ; 4-byte Folded Spill
	buffer_store_dword v54, off, s[48:51], 0 offset:1280 ; 4-byte Folded Spill
	buffer_store_dword v55, off, s[48:51], 0 offset:1284 ; 4-byte Folded Spill
	ds_read_b128 v[0:3], v20 offset:19968
	s_waitcnt lgkmcnt(0)
	v_mul_f64 v[6:7], v[2:3], v[54:55]
	v_fma_f64 v[84:85], v[0:1], v[52:53], -v[6:7]
	v_mul_f64 v[0:1], v[0:1], v[54:55]
	v_fma_f64 v[86:87], v[2:3], v[52:53], v[0:1]
	global_load_dwordx4 v[52:55], v[4:5], off offset:832
	s_waitcnt vmcnt(0)
	buffer_store_dword v52, off, s[48:51], 0 offset:1288 ; 4-byte Folded Spill
	s_nop 0
	buffer_store_dword v53, off, s[48:51], 0 offset:1292 ; 4-byte Folded Spill
	buffer_store_dword v54, off, s[48:51], 0 offset:1296 ; 4-byte Folded Spill
	buffer_store_dword v55, off, s[48:51], 0 offset:1300 ; 4-byte Folded Spill
	ds_read_b128 v[0:3], v20 offset:27648
	s_waitcnt lgkmcnt(0)
	v_mul_f64 v[6:7], v[2:3], v[54:55]
	v_fma_f64 v[90:91], v[0:1], v[52:53], -v[6:7]
	;; [unrolled: 13-line block ×3, first 2 shown]
	v_mul_f64 v[0:1], v[0:1], v[54:55]
	v_fma_f64 v[94:95], v[2:3], v[52:53], v[0:1]
	global_load_dwordx4 v[52:55], v[4:5], off offset:864
	ds_read_b128 v[0:3], v20 offset:43008
	s_waitcnt vmcnt(0) lgkmcnt(0)
	v_mul_f64 v[4:5], v[2:3], v[54:55]
	v_fma_f64 v[98:99], v[0:1], v[52:53], -v[4:5]
	buffer_store_dword v52, off, s[48:51], 0 offset:1320 ; 4-byte Folded Spill
	s_nop 0
	buffer_store_dword v53, off, s[48:51], 0 offset:1324 ; 4-byte Folded Spill
	buffer_store_dword v54, off, s[48:51], 0 offset:1328 ; 4-byte Folded Spill
	buffer_store_dword v55, off, s[48:51], 0 offset:1332 ; 4-byte Folded Spill
	buffer_store_dword v172, off, s[48:51], 0 offset:504 ; 4-byte Folded Spill
	v_mul_f64 v[0:1], v[0:1], v[54:55]
	v_fma_f64 v[96:97], v[2:3], v[52:53], v[0:1]
	v_mul_u32_u24_e32 v0, 0x8889, v172
	v_lshrrev_b32_e32 v134, 21, v0
	v_mul_lo_u16_e32 v0, 60, v134
	v_sub_u16_e32 v135, v172, v0
	v_mul_lo_u16_e32 v0, 0x50, v135
	v_add_co_u32_e64 v4, s[0:1], s2, v0
	v_addc_co_u32_e64 v5, s[0:1], 0, v127, s[0:1]
	global_load_dwordx4 v[52:55], v[4:5], off offset:800
	ds_read_b128 v[0:3], v20 offset:13824
	v_cmp_lt_u16_e64 s[0:1], 59, v170
	s_waitcnt vmcnt(0) lgkmcnt(0)
	v_mul_f64 v[6:7], v[2:3], v[54:55]
	v_fma_f64 v[60:61], v[0:1], v[52:53], -v[6:7]
	buffer_store_dword v52, off, s[48:51], 0 offset:1376 ; 4-byte Folded Spill
	s_nop 0
	buffer_store_dword v53, off, s[48:51], 0 offset:1380 ; 4-byte Folded Spill
	buffer_store_dword v54, off, s[48:51], 0 offset:1384 ; 4-byte Folded Spill
	;; [unrolled: 1-line block ×3, first 2 shown]
	v_mul_f64 v[0:1], v[0:1], v[54:55]
	v_fma_f64 v[62:63], v[2:3], v[52:53], v[0:1]
	global_load_dwordx4 v[52:55], v[4:5], off offset:816
	s_waitcnt vmcnt(0)
	buffer_store_dword v52, off, s[48:51], 0 offset:1392 ; 4-byte Folded Spill
	s_nop 0
	buffer_store_dword v53, off, s[48:51], 0 offset:1396 ; 4-byte Folded Spill
	buffer_store_dword v54, off, s[48:51], 0 offset:1400 ; 4-byte Folded Spill
	buffer_store_dword v55, off, s[48:51], 0 offset:1404 ; 4-byte Folded Spill
	ds_read_b128 v[0:3], v20 offset:21504
	s_waitcnt lgkmcnt(0)
	v_mul_f64 v[6:7], v[2:3], v[54:55]
	v_fma_f64 v[64:65], v[0:1], v[52:53], -v[6:7]
	v_mul_f64 v[0:1], v[0:1], v[54:55]
	v_fma_f64 v[66:67], v[2:3], v[52:53], v[0:1]
	global_load_dwordx4 v[52:55], v[4:5], off offset:832
	s_waitcnt vmcnt(0)
	buffer_store_dword v52, off, s[48:51], 0 offset:1408 ; 4-byte Folded Spill
	s_nop 0
	buffer_store_dword v53, off, s[48:51], 0 offset:1412 ; 4-byte Folded Spill
	buffer_store_dword v54, off, s[48:51], 0 offset:1416 ; 4-byte Folded Spill
	buffer_store_dword v55, off, s[48:51], 0 offset:1420 ; 4-byte Folded Spill
	ds_read_b128 v[0:3], v20 offset:29184
	s_waitcnt lgkmcnt(0)
	v_mul_f64 v[6:7], v[2:3], v[54:55]
	v_fma_f64 v[70:71], v[0:1], v[52:53], -v[6:7]
	;; [unrolled: 13-line block ×4, first 2 shown]
	v_mul_f64 v[0:1], v[0:1], v[54:55]
	v_add_f64 v[4:5], v[12:13], v[28:29]
	v_fma_f64 v[76:77], v[2:3], v[52:53], v[0:1]
	ds_read_b128 v[0:3], v20
	s_waitcnt lgkmcnt(0)
	v_fma_f64 v[30:31], v[4:5], -0.5, v[0:1]
	v_add_f64 v[4:5], v[14:15], v[22:23]
	v_add_f64 v[0:1], v[0:1], v[12:13]
	v_fma_f64 v[52:53], v[4:5], -0.5, v[2:3]
	v_add_f64 v[4:5], v[0:1], v[28:29]
	v_add_f64 v[0:1], v[8:9], v[18:19]
	;; [unrolled: 1-line block ×6, first 2 shown]
	v_add_f64 v[22:23], v[14:15], -v[22:23]
	v_add_f64 v[116:117], v[0:1], v[24:25]
	v_add_f64 v[0:1], v[4:5], v[54:55]
	v_add_f64 v[4:5], v[4:5], -v[54:55]
	v_add_f64 v[54:55], v[16:17], v[24:25]
	v_add_f64 v[16:17], v[16:17], -v[24:25]
	;; [unrolled: 2-line block ×3, first 2 shown]
	v_fma_f64 v[54:55], v[54:55], -0.5, v[10:11]
	v_add_f64 v[10:11], v[18:19], v[26:27]
	v_add_f64 v[18:19], v[18:19], -v[26:27]
	v_add_f64 v[26:27], v[12:13], -v[28:29]
	v_fma_f64 v[28:29], v[10:11], -0.5, v[8:9]
	v_fma_f64 v[8:9], v[18:19], s[12:13], v[54:55]
	v_fma_f64 v[116:117], v[26:27], s[12:13], v[52:53]
	;; [unrolled: 1-line block ×4, first 2 shown]
	v_mul_f64 v[12:13], v[8:9], s[6:7]
	v_fma_f64 v[16:17], v[16:17], s[12:13], v[28:29]
	v_fma_f64 v[24:25], v[10:11], 0.5, v[12:13]
	v_mul_f64 v[10:11], v[10:11], s[12:13]
	v_fma_f64 v[10:11], v[8:9], 0.5, v[10:11]
	v_fma_f64 v[8:9], v[22:23], s[6:7], v[30:31]
	v_fma_f64 v[22:23], v[22:23], s[12:13], v[30:31]
	v_add_f64 v[14:15], v[116:117], v[10:11]
	v_add_f64 v[12:13], v[8:9], v[24:25]
	v_add_f64 v[8:9], v[8:9], -v[24:25]
	v_fma_f64 v[24:25], v[26:27], s[6:7], v[52:53]
	v_mul_f64 v[26:27], v[16:17], -0.5
	v_add_f64 v[10:11], v[116:117], -v[10:11]
	v_fma_f64 v[26:27], v[18:19], s[6:7], v[26:27]
	v_mul_f64 v[18:19], v[18:19], -0.5
	v_add_f64 v[116:117], v[22:23], v[26:27]
	v_fma_f64 v[18:19], v[16:17], s[12:13], v[18:19]
	v_add_f64 v[16:17], v[22:23], -v[26:27]
	v_add_f64 v[26:27], v[36:37], v[44:45]
	v_add_f64 v[118:119], v[24:25], v[18:19]
	v_add_f64 v[18:19], v[24:25], -v[18:19]
	ds_read_b128 v[22:25], v20 offset:1536
	s_waitcnt lgkmcnt(0)
	v_fma_f64 v[52:53], v[26:27], -0.5, v[22:23]
	v_add_f64 v[26:27], v[38:39], v[46:47]
	v_add_f64 v[22:23], v[22:23], v[36:37]
	v_fma_f64 v[54:55], v[26:27], -0.5, v[24:25]
	v_add_f64 v[24:25], v[24:25], v[38:39]
	v_add_f64 v[22:23], v[22:23], v[44:45]
	v_add_f64 v[44:45], v[36:37], -v[44:45]
	v_add_f64 v[30:31], v[24:25], v[46:47]
	v_add_f64 v[24:25], v[32:33], v[42:43]
	v_add_f64 v[46:47], v[38:39], -v[46:47]
	v_add_f64 v[28:29], v[24:25], v[50:51]
	v_add_f64 v[24:25], v[34:35], v[40:41]
	;; [unrolled: 1-line block ×4, first 2 shown]
	v_add_f64 v[28:29], v[22:23], -v[28:29]
	v_add_f64 v[22:23], v[40:41], v[48:49]
	v_add_f64 v[40:41], v[40:41], -v[48:49]
	v_add_f64 v[26:27], v[30:31], v[124:125]
	v_add_f64 v[30:31], v[30:31], -v[124:125]
	v_fma_f64 v[124:125], v[44:45], s[12:13], v[54:55]
	v_fma_f64 v[22:23], v[22:23], -0.5, v[34:35]
	v_add_f64 v[34:35], v[42:43], v[50:51]
	v_add_f64 v[42:43], v[42:43], -v[50:51]
	v_fma_f64 v[50:51], v[34:35], -0.5, v[32:33]
	v_fma_f64 v[32:33], v[42:43], s[12:13], v[22:23]
	v_fma_f64 v[22:23], v[42:43], s[6:7], v[22:23]
	;; [unrolled: 1-line block ×3, first 2 shown]
	v_mul_f64 v[36:37], v[32:33], s[6:7]
	v_fma_f64 v[40:41], v[40:41], s[12:13], v[50:51]
	v_fma_f64 v[50:51], v[44:45], s[6:7], v[54:55]
	v_fma_f64 v[48:49], v[34:35], 0.5, v[36:37]
	v_mul_f64 v[34:35], v[34:35], s[12:13]
	v_mul_f64 v[42:43], v[40:41], -0.5
	v_fma_f64 v[34:35], v[32:33], 0.5, v[34:35]
	v_fma_f64 v[32:33], v[46:47], s[6:7], v[52:53]
	v_fma_f64 v[42:43], v[22:23], s[6:7], v[42:43]
	v_mul_f64 v[22:23], v[22:23], -0.5
	v_add_f64 v[38:39], v[124:125], v[34:35]
	v_add_f64 v[36:37], v[32:33], v[48:49]
	v_add_f64 v[32:33], v[32:33], -v[48:49]
	v_fma_f64 v[48:49], v[46:47], s[12:13], v[52:53]
	v_fma_f64 v[22:23], v[40:41], s[12:13], v[22:23]
	v_add_f64 v[52:53], v[102:103], v[110:111]
	v_add_f64 v[34:35], v[124:125], -v[34:35]
	v_add_f64 v[44:45], v[48:49], v[42:43]
	v_add_f64 v[46:47], v[50:51], v[22:23]
	v_add_f64 v[40:41], v[48:49], -v[42:43]
	v_add_f64 v[42:43], v[50:51], -v[22:23]
	v_add_f64 v[22:23], v[100:101], v[108:109]
	ds_read_b128 v[48:51], v20 offset:3072
	s_waitcnt lgkmcnt(0)
	v_fma_f64 v[124:125], v[52:53], -0.5, v[50:51]
	v_add_f64 v[50:51], v[50:51], v[102:103]
	v_fma_f64 v[22:23], v[22:23], -0.5, v[48:49]
	v_add_f64 v[48:49], v[48:49], v[100:101]
	v_add_f64 v[54:55], v[50:51], v[110:111]
	v_add_f64 v[110:111], v[102:103], -v[110:111]
	v_add_f64 v[52:53], v[48:49], v[108:109]
	v_add_f64 v[48:49], v[56:57], v[106:107]
	v_add_f64 v[108:109], v[100:101], -v[108:109]
	v_add_f64 v[136:137], v[48:49], v[114:115]
	v_add_f64 v[48:49], v[58:59], v[104:105]
	;; [unrolled: 1-line block ×4, first 2 shown]
	v_add_f64 v[52:53], v[52:53], -v[136:137]
	v_add_f64 v[136:137], v[104:105], v[112:113]
	v_add_f64 v[104:105], v[104:105], -v[112:113]
	v_add_f64 v[50:51], v[54:55], v[138:139]
	v_add_f64 v[54:55], v[54:55], -v[138:139]
	v_fma_f64 v[138:139], v[108:109], s[12:13], v[124:125]
	v_fma_f64 v[136:137], v[136:137], -0.5, v[58:59]
	v_add_f64 v[58:59], v[106:107], v[114:115]
	v_add_f64 v[106:107], v[106:107], -v[114:115]
	v_fma_f64 v[114:115], v[58:59], -0.5, v[56:57]
	v_fma_f64 v[56:57], v[106:107], s[12:13], v[136:137]
	v_fma_f64 v[106:107], v[106:107], s[6:7], v[136:137]
	v_fma_f64 v[58:59], v[104:105], s[6:7], v[114:115]
	v_mul_f64 v[100:101], v[56:57], s[6:7]
	v_fma_f64 v[104:105], v[104:105], s[12:13], v[114:115]
	v_fma_f64 v[112:113], v[58:59], 0.5, v[100:101]
	v_mul_f64 v[58:59], v[58:59], s[12:13]
	v_fma_f64 v[58:59], v[56:57], 0.5, v[58:59]
	v_fma_f64 v[56:57], v[110:111], s[6:7], v[22:23]
	v_fma_f64 v[22:23], v[110:111], s[12:13], v[22:23]
	;; [unrolled: 1-line block ×3, first 2 shown]
	v_mul_f64 v[108:109], v[104:105], -0.5
	v_add_f64 v[124:125], v[86:87], v[94:95]
	v_add_f64 v[102:103], v[138:139], v[58:59]
	;; [unrolled: 1-line block ×3, first 2 shown]
	v_add_f64 v[56:57], v[56:57], -v[112:113]
	v_add_f64 v[58:59], v[138:139], -v[58:59]
	v_fma_f64 v[108:109], v[106:107], s[6:7], v[108:109]
	v_mul_f64 v[106:107], v[106:107], -0.5
	v_fma_f64 v[112:113], v[104:105], s[12:13], v[106:107]
	v_add_f64 v[104:105], v[22:23], v[108:109]
	v_add_f64 v[108:109], v[22:23], -v[108:109]
	v_add_f64 v[22:23], v[84:85], v[92:93]
	v_add_f64 v[106:107], v[110:111], v[112:113]
	v_add_f64 v[110:111], v[110:111], -v[112:113]
	ds_read_b128 v[112:115], v20 offset:4608
	s_waitcnt lgkmcnt(0)
	v_fma_f64 v[22:23], v[22:23], -0.5, v[112:113]
	v_add_f64 v[112:113], v[112:113], v[84:85]
	v_fma_f64 v[124:125], v[124:125], -0.5, v[114:115]
	v_add_f64 v[114:115], v[114:115], v[86:87]
	v_add_f64 v[136:137], v[112:113], v[92:93]
	;; [unrolled: 1-line block ×4, first 2 shown]
	v_add_f64 v[94:95], v[86:87], -v[94:95]
	v_add_f64 v[92:93], v[84:85], -v[92:93]
	v_add_f64 v[140:141], v[112:113], v[98:99]
	v_add_f64 v[112:113], v[82:83], v[88:89]
	;; [unrolled: 1-line block ×4, first 2 shown]
	v_add_f64 v[136:137], v[136:137], -v[140:141]
	v_add_f64 v[140:141], v[88:89], v[96:97]
	v_add_f64 v[88:89], v[88:89], -v[96:97]
	v_fma_f64 v[96:97], v[94:95], s[6:7], v[22:23]
	v_fma_f64 v[22:23], v[94:95], s[12:13], v[22:23]
	;; [unrolled: 1-line block ×3, first 2 shown]
	v_add_f64 v[114:115], v[138:139], v[142:143]
	v_add_f64 v[138:139], v[138:139], -v[142:143]
	v_fma_f64 v[142:143], v[92:93], s[12:13], v[124:125]
	v_fma_f64 v[140:141], v[140:141], -0.5, v[82:83]
	v_add_f64 v[82:83], v[90:91], v[98:99]
	v_add_f64 v[90:91], v[90:91], -v[98:99]
	v_add_f64 v[124:125], v[66:67], v[74:75]
	v_fma_f64 v[98:99], v[82:83], -0.5, v[80:81]
	v_fma_f64 v[80:81], v[90:91], s[12:13], v[140:141]
	v_fma_f64 v[90:91], v[90:91], s[6:7], v[140:141]
	;; [unrolled: 1-line block ×4, first 2 shown]
	v_mul_f64 v[84:85], v[80:81], s[6:7]
	v_mul_f64 v[92:93], v[88:89], -0.5
	v_fma_f64 v[84:85], v[82:83], 0.5, v[84:85]
	v_mul_f64 v[82:83], v[82:83], s[12:13]
	v_fma_f64 v[92:93], v[90:91], s[6:7], v[92:93]
	v_mul_f64 v[90:91], v[90:91], -0.5
	v_fma_f64 v[86:87], v[80:81], 0.5, v[82:83]
	v_add_f64 v[80:81], v[96:97], v[84:85]
	v_add_f64 v[84:85], v[96:97], -v[84:85]
	v_fma_f64 v[96:97], v[88:89], s[12:13], v[90:91]
	v_add_f64 v[88:89], v[22:23], v[92:93]
	v_add_f64 v[92:93], v[22:23], -v[92:93]
	v_add_f64 v[22:23], v[64:65], v[72:73]
	v_add_f64 v[82:83], v[142:143], v[86:87]
	v_add_f64 v[86:87], v[142:143], -v[86:87]
	v_add_f64 v[90:91], v[94:95], v[96:97]
	v_add_f64 v[94:95], v[94:95], -v[96:97]
	ds_read_b128 v[96:99], v20 offset:6144
	s_waitcnt vmcnt(0) lgkmcnt(0)
	s_barrier
	v_fma_f64 v[22:23], v[22:23], -0.5, v[96:97]
	v_add_f64 v[96:97], v[96:97], v[64:65]
	v_fma_f64 v[124:125], v[124:125], -0.5, v[98:99]
	v_add_f64 v[98:99], v[98:99], v[66:67]
	v_add_f64 v[140:141], v[96:97], v[72:73]
	;; [unrolled: 1-line block ×4, first 2 shown]
	v_add_f64 v[74:75], v[66:67], -v[74:75]
	v_add_f64 v[72:73], v[64:65], -v[72:73]
	v_add_f64 v[144:145], v[96:97], v[78:79]
	v_add_f64 v[96:97], v[62:63], v[68:69]
	;; [unrolled: 1-line block ×4, first 2 shown]
	v_add_f64 v[140:141], v[140:141], -v[144:145]
	v_add_f64 v[144:145], v[68:69], v[76:77]
	v_add_f64 v[68:69], v[68:69], -v[76:77]
	v_fma_f64 v[76:77], v[74:75], s[6:7], v[22:23]
	v_fma_f64 v[22:23], v[74:75], s[12:13], v[22:23]
	;; [unrolled: 1-line block ×3, first 2 shown]
	v_add_f64 v[98:99], v[142:143], v[146:147]
	v_add_f64 v[142:143], v[142:143], -v[146:147]
	v_fma_f64 v[146:147], v[72:73], s[12:13], v[124:125]
	v_fma_f64 v[144:145], v[144:145], -0.5, v[62:63]
	v_add_f64 v[62:63], v[70:71], v[78:79]
	v_add_f64 v[70:71], v[70:71], -v[78:79]
	v_fma_f64 v[78:79], v[62:63], -0.5, v[60:61]
	v_fma_f64 v[60:61], v[70:71], s[12:13], v[144:145]
	v_fma_f64 v[70:71], v[70:71], s[6:7], v[144:145]
	;; [unrolled: 1-line block ×4, first 2 shown]
	v_mul_f64 v[64:65], v[60:61], s[6:7]
	v_mul_f64 v[72:73], v[68:69], -0.5
	v_fma_f64 v[64:65], v[62:63], 0.5, v[64:65]
	v_mul_f64 v[62:63], v[62:63], s[12:13]
	v_fma_f64 v[72:73], v[70:71], s[6:7], v[72:73]
	v_mul_f64 v[70:71], v[70:71], -0.5
	v_fma_f64 v[66:67], v[60:61], 0.5, v[62:63]
	v_add_f64 v[60:61], v[76:77], v[64:65]
	v_add_f64 v[64:65], v[76:77], -v[64:65]
	v_fma_f64 v[76:77], v[68:69], s[12:13], v[70:71]
	v_add_f64 v[68:69], v[22:23], v[72:73]
	v_add_f64 v[72:73], v[22:23], -v[72:73]
	v_mov_b32_e32 v22, 0x168
	v_cndmask_b32_e64 v22, 0, v22, s[0:1]
	v_add_lshl_u32 v195, v120, v22, 4
	ds_write_b128 v195, v[0:3]
	ds_write_b128 v195, v[12:15] offset:960
	ds_write_b128 v195, v[116:119] offset:1920
	;; [unrolled: 1-line block ×5, first 2 shown]
	v_mul_u32_u24_e32 v0, 0x168, v121
	v_add_lshl_u32 v0, v0, v130, 4
	s_movk_i32 s0, 0x168
	buffer_store_dword v0, off, s[48:51], 0 offset:1636 ; 4-byte Folded Spill
	ds_write_b128 v0, v[24:27]
	ds_write_b128 v0, v[36:39] offset:960
	ds_write_b128 v0, v[44:47] offset:1920
	;; [unrolled: 1-line block ×5, first 2 shown]
	v_mad_legacy_u16 v0, v131, s0, v129
	v_add_f64 v[62:63], v[146:147], v[66:67]
	v_lshlrev_b32_e32 v0, 4, v0
	v_add_f64 v[70:71], v[74:75], v[76:77]
	buffer_store_dword v0, off, s[48:51], 0 offset:1476 ; 4-byte Folded Spill
	ds_write_b128 v0, v[48:51]
	ds_write_b128 v0, v[100:103] offset:960
	ds_write_b128 v0, v[104:107] offset:1920
	;; [unrolled: 1-line block ×5, first 2 shown]
	v_mad_legacy_u16 v0, v132, s0, v133
	v_lshlrev_b32_e32 v0, 4, v0
	v_add_f64 v[66:67], v[146:147], -v[66:67]
	buffer_store_dword v0, off, s[48:51], 0 offset:1356 ; 4-byte Folded Spill
	ds_write_b128 v0, v[112:115]
	ds_write_b128 v0, v[80:83] offset:960
	ds_write_b128 v0, v[88:91] offset:1920
	;; [unrolled: 1-line block ×5, first 2 shown]
	v_mad_legacy_u16 v0, v134, s0, v135
	v_add_co_u32_e64 v6, s[0:1], s2, v20
	v_add_f64 v[74:75], v[74:75], -v[76:77]
	v_addc_co_u32_e64 v7, s[0:1], 0, v127, s[0:1]
	v_add_co_u32_e64 v12, s[0:1], s33, v6
	v_lshlrev_b32_e32 v0, 4, v0
	v_addc_co_u32_e64 v13, s[0:1], 0, v7, s[0:1]
	buffer_store_dword v0, off, s[48:51], 0 offset:1236 ; 4-byte Folded Spill
	ds_write_b128 v0, v[96:99]
	ds_write_b128 v0, v[60:63] offset:960
	ds_write_b128 v0, v[68:71] offset:1920
	;; [unrolled: 1-line block ×5, first 2 shown]
	s_waitcnt vmcnt(0) lgkmcnt(0)
	s_barrier
	global_load_dwordx4 v[8:11], v[12:13], off offset:1504
	s_waitcnt vmcnt(0)
	buffer_store_dword v8, off, s[48:51], 0 offset:1204 ; 4-byte Folded Spill
	s_nop 0
	buffer_store_dword v9, off, s[48:51], 0 offset:1208 ; 4-byte Folded Spill
	buffer_store_dword v10, off, s[48:51], 0 offset:1212 ; 4-byte Folded Spill
	;; [unrolled: 1-line block ×3, first 2 shown]
	ds_read_b128 v[0:3], v20 offset:23040
	s_waitcnt lgkmcnt(0)
	v_mul_f64 v[4:5], v[2:3], v[10:11]
	v_fma_f64 v[14:15], v[0:1], v[8:9], -v[4:5]
	v_mul_f64 v[0:1], v[0:1], v[10:11]
	v_fma_f64 v[16:17], v[2:3], v[8:9], v[0:1]
	global_load_dwordx4 v[8:11], v[12:13], off offset:3040
	s_waitcnt vmcnt(0)
	buffer_store_dword v8, off, s[48:51], 0 offset:1188 ; 4-byte Folded Spill
	s_nop 0
	buffer_store_dword v9, off, s[48:51], 0 offset:1192 ; 4-byte Folded Spill
	buffer_store_dword v10, off, s[48:51], 0 offset:1196 ; 4-byte Folded Spill
	;; [unrolled: 1-line block ×3, first 2 shown]
	ds_read_b128 v[0:3], v20 offset:24576
	s_waitcnt lgkmcnt(0)
	v_mul_f64 v[4:5], v[2:3], v[10:11]
	v_fma_f64 v[22:23], v[0:1], v[8:9], -v[4:5]
	v_mul_f64 v[0:1], v[0:1], v[10:11]
	v_fma_f64 v[24:25], v[2:3], v[8:9], v[0:1]
	v_add_co_u32_e64 v0, s[0:1], s34, v6
	v_addc_co_u32_e64 v1, s[0:1], 0, v7, s[0:1]
	global_load_dwordx4 v[26:29], v[0:1], off offset:480
	s_waitcnt vmcnt(0)
	buffer_store_dword v26, off, s[48:51], 0 offset:1220 ; 4-byte Folded Spill
	s_nop 0
	buffer_store_dword v27, off, s[48:51], 0 offset:1224 ; 4-byte Folded Spill
	buffer_store_dword v28, off, s[48:51], 0 offset:1228 ; 4-byte Folded Spill
	;; [unrolled: 1-line block ×3, first 2 shown]
	ds_read_b128 v[2:5], v20 offset:26112
	s_movk_i32 s0, 0x48
	v_cmp_gt_u16_e64 s[0:1], s0, v170
	s_waitcnt lgkmcnt(0)
	v_mul_f64 v[8:9], v[4:5], v[28:29]
	v_fma_f64 v[30:31], v[2:3], v[26:27], -v[8:9]
	v_mul_f64 v[2:3], v[2:3], v[28:29]
	v_fma_f64 v[32:33], v[4:5], v[26:27], v[2:3]
	v_addc_co_u32_e64 v2, s[44:45], 0, 0, vcc
	v_add_co_u32_e32 v4, vcc, s3, v170
	v_addc_co_u32_e64 v3, s[44:45], 0, -1, vcc
	v_cndmask_b32_e64 v3, v3, v2, s[0:1]
	v_cndmask_b32_e64 v2, v4, v128, s[0:1]
	v_lshlrev_b64 v[3:4], 4, v[2:3]
	s_movk_i32 s0, 0x2a0
	v_add_co_u32_e32 v3, vcc, s2, v3
	v_addc_co_u32_e32 v4, vcc, v127, v4, vcc
	v_add_co_u32_e32 v3, vcc, s33, v3
	v_addc_co_u32_e32 v4, vcc, 0, v4, vcc
	global_load_dwordx4 v[26:29], v[3:4], off offset:1504
	s_waitcnt vmcnt(0)
	buffer_store_dword v26, off, s[48:51], 0 offset:1240 ; 4-byte Folded Spill
	s_nop 0
	buffer_store_dword v27, off, s[48:51], 0 offset:1244 ; 4-byte Folded Spill
	buffer_store_dword v28, off, s[48:51], 0 offset:1248 ; 4-byte Folded Spill
	;; [unrolled: 1-line block ×3, first 2 shown]
	ds_read_b128 v[8:11], v20 offset:27648
	s_movk_i32 s3, 0x2d83
	s_waitcnt lgkmcnt(0)
	v_mul_f64 v[3:4], v[10:11], v[28:29]
	v_fma_f64 v[38:39], v[8:9], v[26:27], -v[3:4]
	v_mul_f64 v[3:4], v[8:9], v[28:29]
	v_fma_f64 v[40:41], v[10:11], v[26:27], v[3:4]
	global_load_dwordx4 v[26:29], v[12:13], off offset:1888
	s_waitcnt vmcnt(0)
	buffer_store_dword v26, off, s[48:51], 0 offset:1340 ; 4-byte Folded Spill
	s_nop 0
	buffer_store_dword v27, off, s[48:51], 0 offset:1344 ; 4-byte Folded Spill
	buffer_store_dword v28, off, s[48:51], 0 offset:1348 ; 4-byte Folded Spill
	buffer_store_dword v29, off, s[48:51], 0 offset:1352 ; 4-byte Folded Spill
	ds_read_b128 v[8:11], v20 offset:29184
	s_waitcnt lgkmcnt(0)
	v_mul_f64 v[3:4], v[10:11], v[28:29]
	v_fma_f64 v[46:47], v[8:9], v[26:27], -v[3:4]
	v_mul_f64 v[3:4], v[8:9], v[28:29]
	v_fma_f64 v[48:49], v[10:11], v[26:27], v[3:4]
	global_load_dwordx4 v[26:29], v[12:13], off offset:3424
	s_waitcnt vmcnt(0)
	buffer_store_dword v26, off, s[48:51], 0 offset:1360 ; 4-byte Folded Spill
	s_nop 0
	buffer_store_dword v27, off, s[48:51], 0 offset:1364 ; 4-byte Folded Spill
	buffer_store_dword v28, off, s[48:51], 0 offset:1368 ; 4-byte Folded Spill
	buffer_store_dword v29, off, s[48:51], 0 offset:1372 ; 4-byte Folded Spill
	ds_read_b128 v[8:11], v20 offset:30720
	;; [unrolled: 13-line block ×3, first 2 shown]
	s_waitcnt lgkmcnt(0)
	v_mul_f64 v[3:4], v[10:11], v[28:29]
	v_fma_f64 v[62:63], v[8:9], v[26:27], -v[3:4]
	v_mul_f64 v[3:4], v[8:9], v[28:29]
	v_fma_f64 v[64:65], v[10:11], v[26:27], v[3:4]
	v_add_co_u32_e32 v4, vcc, s0, v170
	v_mul_u32_u24_sdwa v3, v4, s3 dst_sel:DWORD dst_unused:UNUSED_PAD src0_sel:WORD_0 src1_sel:DWORD
	v_lshrrev_b32_e32 v3, 22, v3
	v_mul_lo_u16_e32 v5, 0x168, v3
	v_sub_u16_e32 v5, v4, v5
	v_lshlrev_b32_e32 v8, 4, v5
	v_add_co_u32_e64 v8, s[0:1], s2, v8
	v_addc_co_u32_e64 v9, s[0:1], 0, v127, s[0:1]
	v_add_co_u32_e64 v8, s[0:1], s33, v8
	v_addc_co_u32_e64 v9, s[0:1], 0, v9, s[0:1]
	global_load_dwordx4 v[26:29], v[8:9], off offset:1504
	ds_read_b128 v[8:11], v20 offset:33792
	s_waitcnt vmcnt(0) lgkmcnt(0)
	v_mul_f64 v[12:13], v[10:11], v[28:29]
	v_fma_f64 v[70:71], v[8:9], v[26:27], -v[12:13]
	buffer_store_dword v26, off, s[48:51], 0 offset:1480 ; 4-byte Folded Spill
	s_nop 0
	buffer_store_dword v27, off, s[48:51], 0 offset:1484 ; 4-byte Folded Spill
	buffer_store_dword v28, off, s[48:51], 0 offset:1488 ; 4-byte Folded Spill
	;; [unrolled: 1-line block ×4, first 2 shown]
	v_mul_f64 v[8:9], v[8:9], v[28:29]
	v_fma_f64 v[72:73], v[10:11], v[26:27], v[8:9]
	v_mul_u32_u24_e32 v8, 0x2d83, v171
	v_lshrrev_b32_e32 v8, 22, v8
	v_mul_lo_u16_e32 v8, 0x168, v8
	v_sub_u16_e32 v8, v171, v8
	v_lshlrev_b32_e32 v137, 4, v8
	v_add_co_u32_e64 v8, s[0:1], s2, v137
	v_addc_co_u32_e64 v9, s[0:1], 0, v127, s[0:1]
	v_add_co_u32_e64 v8, s[0:1], s33, v8
	v_addc_co_u32_e64 v9, s[0:1], 0, v9, s[0:1]
	global_load_dwordx4 v[26:29], v[8:9], off offset:1504
	s_waitcnt vmcnt(0)
	buffer_store_dword v26, off, s[48:51], 0 offset:1496 ; 4-byte Folded Spill
	s_nop 0
	buffer_store_dword v27, off, s[48:51], 0 offset:1500 ; 4-byte Folded Spill
	buffer_store_dword v28, off, s[48:51], 0 offset:1504 ; 4-byte Folded Spill
	;; [unrolled: 1-line block ×3, first 2 shown]
	ds_read_b128 v[8:11], v20 offset:35328
	s_waitcnt lgkmcnt(0)
	v_mul_f64 v[12:13], v[10:11], v[28:29]
	v_fma_f64 v[78:79], v[8:9], v[26:27], -v[12:13]
	v_mul_f64 v[8:9], v[8:9], v[28:29]
	v_fma_f64 v[80:81], v[10:11], v[26:27], v[8:9]
	v_add_u32_e32 v8, 0x360, v170
	v_mul_u32_u24_sdwa v9, v8, s3 dst_sel:DWORD dst_unused:UNUSED_PAD src0_sel:WORD_0 src1_sel:DWORD
	v_lshrrev_b32_e32 v9, 22, v9
	v_mul_lo_u16_e32 v9, 0x168, v9
	v_sub_u16_e32 v8, v8, v9
	v_lshlrev_b32_e32 v138, 4, v8
	v_add_co_u32_e64 v8, s[0:1], s2, v138
	v_addc_co_u32_e64 v9, s[0:1], 0, v127, s[0:1]
	v_add_co_u32_e64 v8, s[0:1], s33, v8
	v_addc_co_u32_e64 v9, s[0:1], 0, v9, s[0:1]
	global_load_dwordx4 v[26:29], v[8:9], off offset:1504
	ds_read_b128 v[8:11], v20 offset:36864
	s_waitcnt vmcnt(0) lgkmcnt(0)
	v_mul_f64 v[12:13], v[10:11], v[28:29]
	v_fma_f64 v[86:87], v[8:9], v[26:27], -v[12:13]
	buffer_store_dword v26, off, s[48:51], 0 offset:1512 ; 4-byte Folded Spill
	s_nop 0
	buffer_store_dword v27, off, s[48:51], 0 offset:1516 ; 4-byte Folded Spill
	buffer_store_dword v28, off, s[48:51], 0 offset:1520 ; 4-byte Folded Spill
	;; [unrolled: 1-line block ×3, first 2 shown]
	v_mul_f64 v[8:9], v[8:9], v[28:29]
	v_fma_f64 v[88:89], v[10:11], v[26:27], v[8:9]
	v_add_u32_e32 v8, 0x3c0, v170
	v_mul_u32_u24_sdwa v9, v8, s3 dst_sel:DWORD dst_unused:UNUSED_PAD src0_sel:WORD_0 src1_sel:DWORD
	v_lshrrev_b32_e32 v9, 22, v9
	v_mul_lo_u16_e32 v9, 0x168, v9
	v_sub_u16_e32 v8, v8, v9
	v_lshlrev_b32_e32 v139, 4, v8
	v_add_co_u32_e64 v8, s[0:1], s2, v139
	v_addc_co_u32_e64 v9, s[0:1], 0, v127, s[0:1]
	v_add_co_u32_e64 v8, s[0:1], s33, v8
	v_addc_co_u32_e64 v9, s[0:1], 0, v9, s[0:1]
	global_load_dwordx4 v[26:29], v[8:9], off offset:1504
	s_waitcnt vmcnt(0)
	buffer_store_dword v26, off, s[48:51], 0 offset:1528 ; 4-byte Folded Spill
	s_nop 0
	buffer_store_dword v27, off, s[48:51], 0 offset:1532 ; 4-byte Folded Spill
	buffer_store_dword v28, off, s[48:51], 0 offset:1536 ; 4-byte Folded Spill
	;; [unrolled: 1-line block ×3, first 2 shown]
	ds_read_b128 v[8:11], v20 offset:38400
	ds_read_b128 v[34:37], v20 offset:4608
	s_movk_i32 s0, 0x420
	ds_read_b128 v[42:45], v20 offset:6144
	ds_read_b128 v[50:53], v20 offset:7680
	;; [unrolled: 1-line block ×11, first 2 shown]
	s_waitcnt lgkmcnt(11)
	v_add_f64 v[38:39], v[34:35], -v[38:39]
	v_add_f64 v[40:41], v[36:37], -v[40:41]
	s_waitcnt lgkmcnt(10)
	v_add_f64 v[46:47], v[42:43], -v[46:47]
	v_add_f64 v[48:49], v[44:45], -v[48:49]
	s_waitcnt lgkmcnt(7)
	v_add_f64 v[70:71], v[66:67], -v[70:71]
	v_add_f64 v[72:73], v[68:69], -v[72:73]
	v_add_f64 v[54:55], v[50:51], -v[54:55]
	v_add_f64 v[56:57], v[52:53], -v[56:57]
	s_waitcnt lgkmcnt(6)
	v_add_f64 v[78:79], v[74:75], -v[78:79]
	v_add_f64 v[80:81], v[76:77], -v[80:81]
	s_waitcnt lgkmcnt(5)
	v_add_f64 v[86:87], v[82:83], -v[86:87]
	v_add_f64 v[88:89], v[84:85], -v[88:89]
	;; [unrolled: 1-line block ×4, first 2 shown]
	v_fma_f64 v[34:35], v[34:35], 2.0, -v[38:39]
	v_fma_f64 v[36:37], v[36:37], 2.0, -v[40:41]
	;; [unrolled: 1-line block ×12, first 2 shown]
	buffer_store_dword v173, off, s[48:51], 0 offset:512 ; 4-byte Folded Spill
	v_fma_f64 v[58:59], v[58:59], 2.0, -v[62:63]
	v_fma_f64 v[60:61], v[60:61], 2.0, -v[64:65]
	v_mul_f64 v[12:13], v[10:11], v[28:29]
	v_fma_f64 v[94:95], v[8:9], v[26:27], -v[12:13]
	v_mul_f64 v[8:9], v[8:9], v[28:29]
	s_waitcnt lgkmcnt(4)
	v_add_f64 v[94:95], v[90:91], -v[94:95]
	v_fma_f64 v[96:97], v[10:11], v[26:27], v[8:9]
	v_add_co_u32_e64 v8, s[0:1], s0, v170
	v_mul_u32_u24_sdwa v9, v8, s3 dst_sel:DWORD dst_unused:UNUSED_PAD src0_sel:WORD_0 src1_sel:DWORD
	v_lshrrev_b32_e32 v126, 22, v9
	v_mul_lo_u16_e32 v9, 0x168, v126
	v_sub_u16_e32 v136, v8, v9
	v_lshlrev_b32_e32 v8, 4, v136
	v_add_co_u32_e64 v8, s[0:1], s2, v8
	v_addc_co_u32_e64 v9, s[0:1], 0, v127, s[0:1]
	v_add_co_u32_e64 v8, s[0:1], s33, v8
	v_addc_co_u32_e64 v9, s[0:1], 0, v9, s[0:1]
	global_load_dwordx4 v[240:243], v[8:9], off offset:1504
	ds_read_b128 v[8:11], v20 offset:39936
	ds_read_b128 v[26:29], v20 offset:3072
	v_add_f64 v[96:97], v[92:93], -v[96:97]
	v_fma_f64 v[90:91], v[90:91], 2.0, -v[94:95]
	s_waitcnt lgkmcnt(0)
	v_add_f64 v[30:31], v[26:27], -v[30:31]
	v_add_f64 v[32:33], v[28:29], -v[32:33]
	v_fma_f64 v[92:93], v[92:93], 2.0, -v[96:97]
	v_fma_f64 v[26:27], v[26:27], 2.0, -v[30:31]
	;; [unrolled: 1-line block ×3, first 2 shown]
	s_waitcnt vmcnt(0)
	v_mul_f64 v[12:13], v[10:11], v[242:243]
	v_fma_f64 v[102:103], v[8:9], v[240:241], -v[12:13]
	v_mul_f64 v[8:9], v[8:9], v[242:243]
	v_add_f64 v[102:103], v[98:99], -v[102:103]
	v_fma_f64 v[104:105], v[10:11], v[240:241], v[8:9]
	v_mul_u32_u24_e32 v8, 0x2d83, v173
	v_lshrrev_b32_e32 v8, 22, v8
	v_mul_lo_u16_e32 v8, 0x168, v8
	v_sub_u16_e32 v8, v173, v8
	v_lshlrev_b32_e32 v140, 4, v8
	v_add_co_u32_e64 v8, s[0:1], s2, v140
	v_addc_co_u32_e64 v9, s[0:1], 0, v127, s[0:1]
	v_add_co_u32_e64 v8, s[0:1], s33, v8
	v_addc_co_u32_e64 v9, s[0:1], 0, v9, s[0:1]
	global_load_dwordx4 v[236:239], v[8:9], off offset:1504
	ds_read_b128 v[8:11], v20 offset:41472
	v_add_f64 v[104:105], v[100:101], -v[104:105]
	v_fma_f64 v[98:99], v[98:99], 2.0, -v[102:103]
	v_fma_f64 v[100:101], v[100:101], 2.0, -v[104:105]
	s_waitcnt vmcnt(0) lgkmcnt(0)
	v_mul_f64 v[12:13], v[10:11], v[238:239]
	v_fma_f64 v[110:111], v[8:9], v[236:237], -v[12:13]
	v_mul_f64 v[8:9], v[8:9], v[238:239]
	v_add_f64 v[110:111], v[106:107], -v[110:111]
	v_fma_f64 v[112:113], v[10:11], v[236:237], v[8:9]
	v_add_u32_e32 v8, 0x4e0, v170
	v_mul_u32_u24_sdwa v9, v8, s3 dst_sel:DWORD dst_unused:UNUSED_PAD src0_sel:WORD_0 src1_sel:DWORD
	v_lshrrev_b32_e32 v9, 22, v9
	v_mul_lo_u16_e32 v9, 0x168, v9
	v_sub_u16_e32 v8, v8, v9
	v_lshlrev_b32_e32 v141, 4, v8
	v_add_co_u32_e64 v8, s[0:1], s2, v141
	v_addc_co_u32_e64 v9, s[0:1], 0, v127, s[0:1]
	v_add_co_u32_e64 v8, s[0:1], s33, v8
	v_addc_co_u32_e64 v9, s[0:1], 0, v9, s[0:1]
	global_load_dwordx4 v[232:235], v[8:9], off offset:1504
	ds_read_b128 v[8:11], v20 offset:43008
	v_add_f64 v[112:113], v[108:109], -v[112:113]
	v_fma_f64 v[106:107], v[106:107], 2.0, -v[110:111]
	v_fma_f64 v[108:109], v[108:109], 2.0, -v[112:113]
	s_waitcnt vmcnt(0) lgkmcnt(0)
	v_mul_f64 v[12:13], v[10:11], v[234:235]
	v_fma_f64 v[118:119], v[8:9], v[232:233], -v[12:13]
	v_mul_f64 v[8:9], v[8:9], v[234:235]
	v_add_f64 v[118:119], v[114:115], -v[118:119]
	v_fma_f64 v[120:121], v[10:11], v[232:233], v[8:9]
	v_add_u32_e32 v8, 0x540, v170
	v_mul_u32_u24_sdwa v9, v8, s3 dst_sel:DWORD dst_unused:UNUSED_PAD src0_sel:WORD_0 src1_sel:DWORD
	v_lshrrev_b32_e32 v9, 22, v9
	v_mul_lo_u16_e32 v9, 0x168, v9
	v_sub_u16_e32 v8, v8, v9
	v_lshlrev_b32_e32 v142, 4, v8
	v_add_co_u32_e64 v8, s[0:1], s2, v142
	v_addc_co_u32_e64 v9, s[0:1], 0, v127, s[0:1]
	v_add_co_u32_e64 v8, s[0:1], s33, v8
	v_addc_co_u32_e64 v9, s[0:1], 0, v9, s[0:1]
	global_load_dwordx4 v[228:231], v[8:9], off offset:1504
	ds_read_b128 v[8:11], v20 offset:44544
	v_add_f64 v[120:121], v[116:117], -v[120:121]
	v_fma_f64 v[114:115], v[114:115], 2.0, -v[118:119]
	s_movk_i32 s0, 0x47
	v_cmp_lt_u16_e64 s[0:1], s0, v170
	s_movk_i32 s3, 0xffd0
	v_fma_f64 v[116:117], v[116:117], 2.0, -v[120:121]
	s_waitcnt vmcnt(0) lgkmcnt(0)
	v_mul_f64 v[12:13], v[10:11], v[230:231]
	v_fma_f64 v[124:125], v[8:9], v[228:229], -v[12:13]
	v_mul_f64 v[8:9], v[8:9], v[230:231]
	v_add_f64 v[132:133], v[128:129], -v[124:125]
	v_fma_f64 v[134:135], v[10:11], v[228:229], v[8:9]
	ds_read_b128 v[8:11], v20
	s_waitcnt lgkmcnt(0)
	v_add_f64 v[12:13], v[8:9], -v[14:15]
	v_add_f64 v[14:15], v[10:11], -v[16:17]
	ds_read_b128 v[16:19], v20 offset:1536
	v_add_f64 v[134:135], v[130:131], -v[134:135]
	v_fma_f64 v[128:129], v[128:129], 2.0, -v[132:133]
	s_waitcnt lgkmcnt(0)
	s_barrier
	v_add_f64 v[22:23], v[16:17], -v[22:23]
	v_add_f64 v[24:25], v[18:19], -v[24:25]
	v_fma_f64 v[8:9], v[8:9], 2.0, -v[12:13]
	v_fma_f64 v[10:11], v[10:11], 2.0, -v[14:15]
	;; [unrolled: 1-line block ×5, first 2 shown]
	ds_write_b128 v20, v[8:11]
	ds_write_b128 v20, v[12:15] offset:5760
	ds_write_b128 v20, v[16:19] offset:1536
	;; [unrolled: 1-line block ×5, first 2 shown]
	v_mov_b32_e32 v8, 0x2d0
	v_cndmask_b32_e64 v8, 0, v8, s[0:1]
	v_add_lshl_u32 v2, v2, v8, 4
	s_movk_i32 s0, 0x2d0
	buffer_store_dword v2, off, s[48:51], 0 offset:1660 ; 4-byte Folded Spill
	ds_write_b128 v2, v[34:37]
	ds_write_b128 v2, v[38:41] offset:5760
	ds_write_b128 v20, v[42:45] offset:11904
	;; [unrolled: 1-line block ×7, first 2 shown]
	v_mad_legacy_u16 v2, v3, s0, v5
	v_lshlrev_b32_e32 v2, 4, v2
	buffer_store_dword v2, off, s[48:51], 0 offset:1656 ; 4-byte Folded Spill
	ds_write_b128 v2, v[66:69]
	ds_write_b128 v2, v[70:73] offset:5760
	v_mad_legacy_u16 v2, v126, s0, v136
	v_lshlrev_b32_e32 v2, 4, v2
	buffer_store_dword v137, off, s[48:51], 0 offset:1652 ; 4-byte Folded Spill
	ds_write_b128 v137, v[74:77] offset:23040
	ds_write_b128 v137, v[78:81] offset:28800
	buffer_store_dword v138, off, s[48:51], 0 offset:1648 ; 4-byte Folded Spill
	ds_write_b128 v138, v[82:85] offset:23040
	ds_write_b128 v138, v[86:89] offset:28800
	;; [unrolled: 3-line block ×3, first 2 shown]
	buffer_store_dword v2, off, s[48:51], 0 offset:1640 ; 4-byte Folded Spill
	ds_write_b128 v2, v[98:101]
	ds_write_b128 v2, v[102:105] offset:5760
	buffer_store_dword v140, off, s[48:51], 0 offset:1632 ; 4-byte Folded Spill
	ds_write_b128 v140, v[106:109] offset:34560
	ds_write_b128 v140, v[110:113] offset:40320
	buffer_store_dword v141, off, s[48:51], 0 offset:1628 ; 4-byte Folded Spill
	ds_write_b128 v141, v[114:117] offset:34560
	;; [unrolled: 3-line block ×3, first 2 shown]
	ds_write_b128 v142, v[132:135] offset:40320
	s_waitcnt vmcnt(0) lgkmcnt(0)
	s_barrier
	global_load_dwordx4 v[14:17], v[0:1], off offset:3168
	s_waitcnt vmcnt(0)
	buffer_store_dword v14, off, s[48:51], 0 offset:1548 ; 4-byte Folded Spill
	s_nop 0
	buffer_store_dword v15, off, s[48:51], 0 offset:1552 ; 4-byte Folded Spill
	buffer_store_dword v16, off, s[48:51], 0 offset:1556 ; 4-byte Folded Spill
	;; [unrolled: 1-line block ×3, first 2 shown]
	ds_read_b128 v[8:11], v20 offset:23040
	v_addc_co_u32_e64 v5, s[44:45], 0, 0, vcc
	s_waitcnt lgkmcnt(0)
	v_mul_f64 v[2:3], v[10:11], v[16:17]
	v_fma_f64 v[12:13], v[8:9], v[14:15], -v[2:3]
	v_mul_f64 v[2:3], v[8:9], v[16:17]
	v_add_co_u32_e64 v16, s[0:1], s35, v6
	v_addc_co_u32_e64 v17, s[0:1], 0, v7, s[0:1]
	global_load_dwordx4 v[24:27], v[16:17], off offset:608
	s_waitcnt vmcnt(0)
	buffer_store_dword v24, off, s[48:51], 0 offset:1564 ; 4-byte Folded Spill
	s_nop 0
	buffer_store_dword v25, off, s[48:51], 0 offset:1568 ; 4-byte Folded Spill
	buffer_store_dword v26, off, s[48:51], 0 offset:1572 ; 4-byte Folded Spill
	;; [unrolled: 1-line block ×3, first 2 shown]
	v_fma_f64 v[14:15], v[10:11], v[14:15], v[2:3]
	ds_read_b128 v[8:11], v20 offset:24576
	v_add_co_u32_e64 v18, s[0:1], s37, v6
	v_addc_co_u32_e64 v19, s[0:1], 0, v7, s[0:1]
	s_waitcnt lgkmcnt(0)
	v_mul_f64 v[2:3], v[10:11], v[26:27]
	v_fma_f64 v[22:23], v[8:9], v[24:25], -v[2:3]
	v_mul_f64 v[2:3], v[8:9], v[26:27]
	global_load_dwordx4 v[26:29], v[16:17], off offset:2144
	s_waitcnt vmcnt(0)
	buffer_store_dword v26, off, s[48:51], 0 offset:1596 ; 4-byte Folded Spill
	s_nop 0
	buffer_store_dword v27, off, s[48:51], 0 offset:1600 ; 4-byte Folded Spill
	buffer_store_dword v28, off, s[48:51], 0 offset:1604 ; 4-byte Folded Spill
	;; [unrolled: 1-line block ×3, first 2 shown]
	v_fma_f64 v[24:25], v[10:11], v[24:25], v[2:3]
	ds_read_b128 v[8:11], v20 offset:26112
	s_waitcnt lgkmcnt(0)
	v_mul_f64 v[2:3], v[10:11], v[28:29]
	v_fma_f64 v[30:31], v[8:9], v[26:27], -v[2:3]
	v_mul_f64 v[2:3], v[8:9], v[28:29]
	v_fma_f64 v[32:33], v[10:11], v[26:27], v[2:3]
	global_load_dwordx4 v[26:29], v[16:17], off offset:3680
	s_waitcnt vmcnt(0)
	buffer_store_dword v26, off, s[48:51], 0 offset:1580 ; 4-byte Folded Spill
	s_nop 0
	buffer_store_dword v27, off, s[48:51], 0 offset:1584 ; 4-byte Folded Spill
	buffer_store_dword v28, off, s[48:51], 0 offset:1588 ; 4-byte Folded Spill
	;; [unrolled: 1-line block ×3, first 2 shown]
	ds_read_b128 v[8:11], v20 offset:27648
	global_load_dwordx4 v[252:255], v[18:19], off offset:1120
	s_waitcnt lgkmcnt(0)
	v_mul_f64 v[2:3], v[10:11], v[28:29]
	v_fma_f64 v[38:39], v[8:9], v[26:27], -v[2:3]
	v_mul_f64 v[2:3], v[8:9], v[28:29]
	v_fma_f64 v[40:41], v[10:11], v[26:27], v[2:3]
	global_load_dwordx4 v[26:29], v[18:19], off offset:2656
	ds_read_b128 v[8:11], v20 offset:29184
	s_waitcnt vmcnt(0)
	buffer_store_dword v26, off, s[48:51], 0 offset:1612 ; 4-byte Folded Spill
	s_nop 0
	buffer_store_dword v27, off, s[48:51], 0 offset:1616 ; 4-byte Folded Spill
	buffer_store_dword v28, off, s[48:51], 0 offset:1620 ; 4-byte Folded Spill
	;; [unrolled: 1-line block ×3, first 2 shown]
	s_waitcnt lgkmcnt(0)
	v_mul_f64 v[2:3], v[10:11], v[254:255]
	ds_read_b128 v[114:117], v20 offset:19968
	global_load_dwordx4 v[224:227], v[0:1], off offset:3936
	global_load_dwordx4 v[220:223], v[16:17], off offset:1376
	;; [unrolled: 1-line block ×6, first 2 shown]
	v_fma_f64 v[46:47], v[8:9], v[252:253], -v[2:3]
	v_mul_f64 v[2:3], v[8:9], v[254:255]
	ds_read_b128 v[66:69], v20 offset:10752
	ds_read_b128 v[74:77], v20 offset:12288
	;; [unrolled: 1-line block ×8, first 2 shown]
	v_fma_f64 v[48:49], v[10:11], v[252:253], v[2:3]
	ds_read_b128 v[8:11], v20 offset:30720
	ds_read_b128 v[98:101], v20 offset:16896
	;; [unrolled: 1-line block ×3, first 2 shown]
	s_waitcnt lgkmcnt(6)
	v_add_f64 v[38:39], v[34:35], -v[38:39]
	v_add_f64 v[40:41], v[36:37], -v[40:41]
	s_waitcnt lgkmcnt(5)
	v_add_f64 v[46:47], v[42:43], -v[46:47]
	buffer_store_dword v170, off, s[48:51], 0 offset:532 ; 4-byte Folded Spill
	v_add_f64 v[48:49], v[44:45], -v[48:49]
	v_fma_f64 v[34:35], v[34:35], 2.0, -v[38:39]
	v_fma_f64 v[36:37], v[36:37], 2.0, -v[40:41]
	;; [unrolled: 1-line block ×4, first 2 shown]
	s_waitcnt lgkmcnt(2)
	v_mul_f64 v[2:3], v[10:11], v[28:29]
	v_fma_f64 v[54:55], v[8:9], v[26:27], -v[2:3]
	v_mul_f64 v[2:3], v[8:9], v[28:29]
	v_add_f64 v[54:55], v[50:51], -v[54:55]
	v_fma_f64 v[56:57], v[10:11], v[26:27], v[2:3]
	v_add_co_u32_e64 v2, s[0:1], s36, v6
	v_addc_co_u32_e64 v3, s[0:1], 0, v7, s[0:1]
	global_load_dwordx4 v[248:251], v[2:3], off offset:96
	ds_read_b128 v[8:11], v20 offset:32256
	v_cmp_gt_u16_e64 s[0:1], 48, v170
	global_load_dwordx4 v[180:183], v[2:3], off offset:864
	v_add_f64 v[56:57], v[52:53], -v[56:57]
	v_fma_f64 v[50:51], v[50:51], 2.0, -v[54:55]
	v_fma_f64 v[52:53], v[52:53], 2.0, -v[56:57]
	s_waitcnt vmcnt(1) lgkmcnt(0)
	v_mul_f64 v[26:27], v[10:11], v[250:251]
	v_fma_f64 v[62:63], v[8:9], v[248:249], -v[26:27]
	v_mul_f64 v[8:9], v[8:9], v[250:251]
	v_add_f64 v[62:63], v[58:59], -v[62:63]
	v_fma_f64 v[64:65], v[10:11], v[248:249], v[8:9]
	v_add_co_u32_e32 v8, vcc, s3, v170
	v_addc_co_u32_e64 v9, s[44:45], 0, -1, vcc
	v_cndmask_b32_e64 v5, v9, v5, s[0:1]
	v_cndmask_b32_e64 v4, v8, v4, s[0:1]
	v_lshlrev_b64 v[8:9], 4, v[4:5]
	v_add_f64 v[64:65], v[60:61], -v[64:65]
	v_add_co_u32_e32 v5, vcc, s2, v8
	v_addc_co_u32_e32 v9, vcc, v127, v9, vcc
	v_add_co_u32_e32 v8, vcc, s34, v5
	v_addc_co_u32_e32 v9, vcc, 0, v9, vcc
	global_load_dwordx4 v[244:247], v[8:9], off offset:3168
	ds_read_b128 v[8:11], v20 offset:33792
	ds_read_b128 v[127:130], v20 offset:21504
	v_cmp_lt_u16_e32 vcc, 47, v170
	v_fma_f64 v[58:59], v[58:59], 2.0, -v[62:63]
	v_fma_f64 v[60:61], v[60:61], 2.0, -v[64:65]
	s_load_dwordx2 s[2:3], s[4:5], 0x38
	s_waitcnt vmcnt(0) lgkmcnt(0)
	v_mul_f64 v[26:27], v[10:11], v[246:247]
	v_fma_f64 v[70:71], v[8:9], v[244:245], -v[26:27]
	v_mul_f64 v[8:9], v[8:9], v[246:247]
	v_add_f64 v[70:71], v[66:67], -v[70:71]
	v_fma_f64 v[72:73], v[10:11], v[244:245], v[8:9]
	ds_read_b128 v[8:11], v20 offset:35328
	s_waitcnt lgkmcnt(0)
	v_mul_f64 v[0:1], v[10:11], v[226:227]
	v_fma_f64 v[66:67], v[66:67], 2.0, -v[70:71]
	v_add_f64 v[72:73], v[68:69], -v[72:73]
	v_fma_f64 v[0:1], v[8:9], v[224:225], -v[0:1]
	v_mul_f64 v[8:9], v[8:9], v[226:227]
	v_fma_f64 v[68:69], v[68:69], 2.0, -v[72:73]
	v_add_f64 v[78:79], v[74:75], -v[0:1]
	v_fma_f64 v[80:81], v[10:11], v[224:225], v[8:9]
	ds_read_b128 v[8:11], v20 offset:36864
	v_mov_b32_e32 v0, 0x5a0
	v_cndmask_b32_e32 v0, 0, v0, vcc
	v_add_lshl_u32 v0, v4, v0, 4
	s_waitcnt lgkmcnt(0)
	v_mul_f64 v[26:27], v[10:11], v[222:223]
	v_fma_f64 v[74:75], v[74:75], 2.0, -v[78:79]
	v_add_f64 v[80:81], v[76:77], -v[80:81]
	v_fma_f64 v[86:87], v[8:9], v[220:221], -v[26:27]
	v_mul_f64 v[8:9], v[8:9], v[222:223]
	ds_read_b128 v[26:29], v20 offset:3072
	v_fma_f64 v[76:77], v[76:77], 2.0, -v[80:81]
	s_waitcnt lgkmcnt(0)
	v_add_f64 v[30:31], v[26:27], -v[30:31]
	v_add_f64 v[32:33], v[28:29], -v[32:33]
	v_fma_f64 v[88:89], v[10:11], v[220:221], v[8:9]
	ds_read_b128 v[8:11], v20 offset:38400
	v_add_f64 v[86:87], v[82:83], -v[86:87]
	s_waitcnt lgkmcnt(0)
	v_mul_f64 v[16:17], v[10:11], v[218:219]
	v_fma_f64 v[26:27], v[26:27], 2.0, -v[30:31]
	v_add_f64 v[88:89], v[84:85], -v[88:89]
	v_fma_f64 v[28:29], v[28:29], 2.0, -v[32:33]
	v_fma_f64 v[82:83], v[82:83], 2.0, -v[86:87]
	v_fma_f64 v[94:95], v[8:9], v[216:217], -v[16:17]
	v_mul_f64 v[8:9], v[8:9], v[218:219]
	v_fma_f64 v[84:85], v[84:85], 2.0, -v[88:89]
	v_add_f64 v[94:95], v[90:91], -v[94:95]
	v_fma_f64 v[96:97], v[10:11], v[216:217], v[8:9]
	ds_read_b128 v[8:11], v20 offset:39936
	s_waitcnt lgkmcnt(0)
	v_mul_f64 v[16:17], v[10:11], v[214:215]
	v_fma_f64 v[90:91], v[90:91], 2.0, -v[94:95]
	v_add_f64 v[96:97], v[92:93], -v[96:97]
	v_fma_f64 v[102:103], v[8:9], v[212:213], -v[16:17]
	v_mul_f64 v[8:9], v[8:9], v[214:215]
	v_fma_f64 v[92:93], v[92:93], 2.0, -v[96:97]
	v_add_f64 v[102:103], v[98:99], -v[102:103]
	v_fma_f64 v[104:105], v[10:11], v[212:213], v[8:9]
	ds_read_b128 v[8:11], v20 offset:41472
	s_waitcnt lgkmcnt(0)
	v_mul_f64 v[16:17], v[10:11], v[210:211]
	v_fma_f64 v[98:99], v[98:99], 2.0, -v[102:103]
	v_add_f64 v[104:105], v[100:101], -v[104:105]
	;; [unrolled: 10-line block ×4, first 2 shown]
	v_fma_f64 v[124:125], v[8:9], v[180:181], -v[16:17]
	v_mul_f64 v[8:9], v[8:9], v[182:183]
	ds_read_b128 v[16:19], v20 offset:1536
	v_fma_f64 v[116:117], v[116:117], 2.0, -v[120:121]
	s_waitcnt lgkmcnt(0)
	v_add_f64 v[22:23], v[16:17], -v[22:23]
	v_add_f64 v[24:25], v[18:19], -v[24:25]
	v_fma_f64 v[133:134], v[10:11], v[180:181], v[8:9]
	ds_read_b128 v[8:11], v20
	v_add_f64 v[131:132], v[127:128], -v[124:125]
	s_waitcnt lgkmcnt(0)
	s_barrier
	v_add_f64 v[12:13], v[8:9], -v[12:13]
	v_add_f64 v[14:15], v[10:11], -v[14:15]
	;; [unrolled: 1-line block ×3, first 2 shown]
	v_fma_f64 v[16:17], v[16:17], 2.0, -v[22:23]
	v_fma_f64 v[18:19], v[18:19], 2.0, -v[24:25]
	v_fma_f64 v[127:128], v[127:128], 2.0, -v[131:132]
	v_fma_f64 v[8:9], v[8:9], 2.0, -v[12:13]
	v_fma_f64 v[10:11], v[10:11], 2.0, -v[14:15]
	v_fma_f64 v[129:130], v[129:130], 2.0, -v[133:134]
	ds_write_b128 v20, v[8:11]
	ds_write_b128 v20, v[12:15] offset:11520
	ds_write_b128 v20, v[16:19] offset:1536
	;; [unrolled: 1-line block ×13, first 2 shown]
	buffer_store_dword v0, off, s[48:51], 0 offset:1664 ; 4-byte Folded Spill
	ds_write_b128 v0, v[66:69]
	ds_write_b128 v0, v[70:73] offset:11520
	ds_write_b128 v20, v[74:77] offset:23808
	;; [unrolled: 1-line block ×15, first 2 shown]
	s_waitcnt vmcnt(0) lgkmcnt(0)
	s_barrier
	global_load_dwordx4 v[204:207], v[2:3], off offset:2400
	global_load_dwordx4 v[196:199], v[2:3], off offset:3936
	ds_read_b128 v[8:11], v20 offset:23040
	ds_read_b128 v[26:29], v20 offset:4608
	;; [unrolled: 1-line block ×13, first 2 shown]
	s_waitcnt vmcnt(1) lgkmcnt(12)
	v_mul_f64 v[0:1], v[10:11], v[206:207]
	v_fma_f64 v[4:5], v[8:9], v[204:205], -v[0:1]
	v_mul_f64 v[0:1], v[8:9], v[206:207]
	v_fma_f64 v[8:9], v[10:11], v[204:205], v[0:1]
	ds_read_b128 v[0:3], v20 offset:24576
	s_waitcnt vmcnt(0) lgkmcnt(0)
	v_mul_f64 v[10:11], v[2:3], v[198:199]
	v_fma_f64 v[12:13], v[0:1], v[196:197], -v[10:11]
	v_add_co_u32_e32 v10, vcc, s39, v6
	v_addc_co_u32_e32 v11, vcc, 0, v7, vcc
	global_load_dwordx4 v[191:194], v[10:11], off offset:1376
	global_load_dwordx4 v[187:190], v[10:11], off offset:2912
	v_mul_f64 v[0:1], v[0:1], v[198:199]
	v_fma_f64 v[14:15], v[2:3], v[196:197], v[0:1]
	ds_read_b128 v[0:3], v20 offset:26112
	s_waitcnt vmcnt(1) lgkmcnt(0)
	v_mul_f64 v[16:17], v[2:3], v[193:194]
	v_fma_f64 v[22:23], v[0:1], v[191:192], -v[16:17]
	v_mul_f64 v[0:1], v[0:1], v[193:194]
	v_fma_f64 v[24:25], v[2:3], v[191:192], v[0:1]
	ds_read_b128 v[0:3], v20 offset:27648
	s_waitcnt vmcnt(0) lgkmcnt(0)
	v_mul_f64 v[10:11], v[2:3], v[189:190]
	v_fma_f64 v[30:31], v[0:1], v[187:188], -v[10:11]
	v_add_co_u32_e32 v10, vcc, s41, v6
	v_addc_co_u32_e32 v11, vcc, 0, v7, vcc
	global_load_dwordx4 v[176:179], v[10:11], off offset:352
	global_load_dwordx4 v[172:175], v[10:11], off offset:1888
	;; [unrolled: 1-line block ×3, first 2 shown]
	v_mul_f64 v[0:1], v[0:1], v[189:190]
	v_add_f64 v[30:31], v[26:27], -v[30:31]
	v_fma_f64 v[32:33], v[2:3], v[187:188], v[0:1]
	ds_read_b128 v[0:3], v20 offset:29184
	v_fma_f64 v[26:27], v[26:27], 2.0, -v[30:31]
	v_add_f64 v[32:33], v[28:29], -v[32:33]
	v_fma_f64 v[28:29], v[28:29], 2.0, -v[32:33]
	s_waitcnt vmcnt(2) lgkmcnt(0)
	v_mul_f64 v[16:17], v[2:3], v[178:179]
	v_fma_f64 v[38:39], v[0:1], v[176:177], -v[16:17]
	v_mul_f64 v[0:1], v[0:1], v[178:179]
	v_add_f64 v[38:39], v[34:35], -v[38:39]
	v_fma_f64 v[40:41], v[2:3], v[176:177], v[0:1]
	ds_read_b128 v[0:3], v20 offset:30720
	s_waitcnt vmcnt(1) lgkmcnt(0)
	v_mul_f64 v[16:17], v[2:3], v[174:175]
	v_fma_f64 v[34:35], v[34:35], 2.0, -v[38:39]
	v_add_f64 v[40:41], v[36:37], -v[40:41]
	v_fma_f64 v[46:47], v[0:1], v[172:173], -v[16:17]
	v_mul_f64 v[0:1], v[0:1], v[174:175]
	v_fma_f64 v[36:37], v[36:37], 2.0, -v[40:41]
	v_add_f64 v[46:47], v[42:43], -v[46:47]
	v_fma_f64 v[48:49], v[2:3], v[172:173], v[0:1]
	ds_read_b128 v[0:3], v20 offset:32256
	s_waitcnt vmcnt(0) lgkmcnt(0)
	v_mul_f64 v[10:11], v[2:3], v[170:171]
	v_fma_f64 v[42:43], v[42:43], 2.0, -v[46:47]
	v_add_f64 v[48:49], v[44:45], -v[48:49]
	v_fma_f64 v[54:55], v[0:1], v[168:169], -v[10:11]
	v_add_co_u32_e32 v10, vcc, s38, v6
	v_addc_co_u32_e32 v11, vcc, 0, v7, vcc
	global_load_dwordx4 v[164:167], v[10:11], off offset:864
	global_load_dwordx4 v[160:163], v[10:11], off offset:2400
	;; [unrolled: 1-line block ×3, first 2 shown]
	v_mul_f64 v[0:1], v[0:1], v[170:171]
	v_add_f64 v[54:55], v[50:51], -v[54:55]
	v_fma_f64 v[44:45], v[44:45], 2.0, -v[48:49]
	v_fma_f64 v[56:57], v[2:3], v[168:169], v[0:1]
	ds_read_b128 v[0:3], v20 offset:33792
	v_fma_f64 v[50:51], v[50:51], 2.0, -v[54:55]
	v_add_f64 v[56:57], v[52:53], -v[56:57]
	v_fma_f64 v[52:53], v[52:53], 2.0, -v[56:57]
	s_waitcnt vmcnt(2) lgkmcnt(0)
	v_mul_f64 v[16:17], v[2:3], v[166:167]
	v_fma_f64 v[62:63], v[0:1], v[164:165], -v[16:17]
	v_mul_f64 v[0:1], v[0:1], v[166:167]
	v_add_f64 v[62:63], v[58:59], -v[62:63]
	v_fma_f64 v[64:65], v[2:3], v[164:165], v[0:1]
	ds_read_b128 v[0:3], v20 offset:35328
	s_waitcnt vmcnt(1) lgkmcnt(0)
	v_mul_f64 v[16:17], v[2:3], v[162:163]
	v_fma_f64 v[58:59], v[58:59], 2.0, -v[62:63]
	v_add_f64 v[64:65], v[60:61], -v[64:65]
	v_fma_f64 v[70:71], v[0:1], v[160:161], -v[16:17]
	v_mul_f64 v[0:1], v[0:1], v[162:163]
	v_fma_f64 v[60:61], v[60:61], 2.0, -v[64:65]
	v_add_f64 v[70:71], v[66:67], -v[70:71]
	v_fma_f64 v[72:73], v[2:3], v[160:161], v[0:1]
	ds_read_b128 v[0:3], v20 offset:36864
	s_waitcnt vmcnt(0) lgkmcnt(0)
	v_mul_f64 v[10:11], v[2:3], v[158:159]
	v_fma_f64 v[66:67], v[66:67], 2.0, -v[70:71]
	v_add_f64 v[72:73], v[68:69], -v[72:73]
	v_fma_f64 v[78:79], v[0:1], v[156:157], -v[10:11]
	v_add_co_u32_e32 v10, vcc, s40, v6
	v_addc_co_u32_e32 v11, vcc, 0, v7, vcc
	global_load_dwordx4 v[148:151], v[10:11], off offset:2912
	global_load_dwordx4 v[152:155], v[10:11], off offset:1376
	v_add_co_u32_e32 v6, vcc, s42, v6
	v_addc_co_u32_e32 v7, vcc, 0, v7, vcc
	global_load_dwordx4 v[144:147], v[6:7], off offset:352
	global_load_dwordx4 v[140:143], v[6:7], off offset:1888
	v_mul_f64 v[0:1], v[0:1], v[158:159]
	global_load_dwordx4 v[136:139], v[6:7], off offset:3424
	v_add_f64 v[78:79], v[74:75], -v[78:79]
	v_fma_f64 v[68:69], v[68:69], 2.0, -v[72:73]
	v_fma_f64 v[80:81], v[2:3], v[156:157], v[0:1]
	ds_read_b128 v[0:3], v20 offset:38400
	v_fma_f64 v[74:75], v[74:75], 2.0, -v[78:79]
	v_add_f64 v[80:81], v[76:77], -v[80:81]
	v_fma_f64 v[76:77], v[76:77], 2.0, -v[80:81]
	s_waitcnt vmcnt(3) lgkmcnt(0)
	v_mul_f64 v[16:17], v[2:3], v[154:155]
	v_fma_f64 v[86:87], v[0:1], v[152:153], -v[16:17]
	v_mul_f64 v[0:1], v[0:1], v[154:155]
	ds_read_b128 v[16:19], v20 offset:3072
	s_waitcnt lgkmcnt(0)
	v_add_f64 v[22:23], v[16:17], -v[22:23]
	v_add_f64 v[24:25], v[18:19], -v[24:25]
	v_fma_f64 v[88:89], v[2:3], v[152:153], v[0:1]
	ds_read_b128 v[0:3], v20 offset:39936
	v_add_f64 v[86:87], v[82:83], -v[86:87]
	s_waitcnt lgkmcnt(0)
	v_mul_f64 v[10:11], v[2:3], v[150:151]
	v_fma_f64 v[16:17], v[16:17], 2.0, -v[22:23]
	v_add_f64 v[88:89], v[84:85], -v[88:89]
	v_fma_f64 v[18:19], v[18:19], 2.0, -v[24:25]
	v_fma_f64 v[82:83], v[82:83], 2.0, -v[86:87]
	v_fma_f64 v[94:95], v[0:1], v[148:149], -v[10:11]
	v_mul_f64 v[0:1], v[0:1], v[150:151]
	v_fma_f64 v[84:85], v[84:85], 2.0, -v[88:89]
	v_add_f64 v[94:95], v[90:91], -v[94:95]
	v_fma_f64 v[96:97], v[2:3], v[148:149], v[0:1]
	ds_read_b128 v[0:3], v20 offset:41472
	s_waitcnt vmcnt(2) lgkmcnt(0)
	v_mul_f64 v[10:11], v[2:3], v[146:147]
	v_fma_f64 v[90:91], v[90:91], 2.0, -v[94:95]
	v_add_f64 v[96:97], v[92:93], -v[96:97]
	v_fma_f64 v[102:103], v[0:1], v[144:145], -v[10:11]
	v_mul_f64 v[0:1], v[0:1], v[146:147]
	v_fma_f64 v[92:93], v[92:93], 2.0, -v[96:97]
	v_add_f64 v[102:103], v[98:99], -v[102:103]
	v_fma_f64 v[104:105], v[2:3], v[144:145], v[0:1]
	ds_read_b128 v[0:3], v20 offset:43008
	s_waitcnt vmcnt(1) lgkmcnt(0)
	v_mul_f64 v[10:11], v[2:3], v[142:143]
	v_fma_f64 v[98:99], v[98:99], 2.0, -v[102:103]
	v_add_f64 v[104:105], v[100:101], -v[104:105]
	;; [unrolled: 10-line block ×3, first 2 shown]
	v_fma_f64 v[118:119], v[0:1], v[136:137], -v[6:7]
	v_mul_f64 v[0:1], v[0:1], v[138:139]
	v_fma_f64 v[108:109], v[108:109], 2.0, -v[112:113]
	v_add_f64 v[118:119], v[114:115], -v[118:119]
	v_fma_f64 v[120:121], v[2:3], v[136:137], v[0:1]
	ds_read_b128 v[0:3], v20
	s_waitcnt lgkmcnt(0)
	v_add_f64 v[6:7], v[2:3], -v[8:9]
	ds_read_b128 v[8:11], v20 offset:1536
	v_add_f64 v[4:5], v[0:1], -v[4:5]
	v_add_f64 v[120:121], v[116:117], -v[120:121]
	v_fma_f64 v[114:115], v[114:115], 2.0, -v[118:119]
	s_waitcnt lgkmcnt(0)
	v_add_f64 v[12:13], v[8:9], -v[12:13]
	v_add_f64 v[14:15], v[10:11], -v[14:15]
	v_fma_f64 v[2:3], v[2:3], 2.0, -v[6:7]
	v_fma_f64 v[0:1], v[0:1], 2.0, -v[4:5]
	;; [unrolled: 1-line block ×5, first 2 shown]
	ds_write_b128 v20, v[0:3]
	ds_write_b128 v20, v[4:7] offset:23040
	ds_write_b128 v20, v[8:11] offset:1536
	;; [unrolled: 1-line block ×29, first 2 shown]
	s_waitcnt lgkmcnt(0)
	s_barrier
	global_load_dwordx4 v[0:3], v20, s[24:25]
	global_load_dwordx4 v[102:105], v20, s[24:25] offset:3072
	ds_read_b128 v[4:7], v20
	ds_read_b128 v[106:109], v20 offset:12288
	ds_read_b128 v[112:115], v20 offset:16896
	;; [unrolled: 1-line block ×3, first 2 shown]
	s_waitcnt vmcnt(1) lgkmcnt(3)
	v_mul_f64 v[8:9], v[6:7], v[2:3]
	v_mul_f64 v[2:3], v[4:5], v[2:3]
	v_fma_f64 v[132:133], v[4:5], v[0:1], -v[8:9]
	v_fma_f64 v[134:135], v[6:7], v[0:1], v[2:3]
	v_add_co_u32_e32 v0, vcc, s24, v20
	v_mov_b32_e32 v1, s25
	v_addc_co_u32_e32 v17, vcc, 0, v1, vcc
	v_add_co_u32_e32 v84, vcc, s33, v0
	v_addc_co_u32_e32 v85, vcc, 0, v17, vcc
	global_load_dwordx4 v[1:4], v[84:85], off offset:512
	ds_read_b128 v[5:8], v20 offset:4608
	s_waitcnt vmcnt(0) lgkmcnt(0)
	v_mul_f64 v[9:10], v[7:8], v[3:4]
	v_mul_f64 v[3:4], v[5:6], v[3:4]
	v_fma_f64 v[128:129], v[5:6], v[1:2], -v[9:10]
	v_add_co_u32_e32 v9, vcc, s34, v0
	v_addc_co_u32_e32 v10, vcc, 0, v17, vcc
	v_fma_f64 v[130:131], v[7:8], v[1:2], v[3:4]
	global_load_dwordx4 v[1:4], v[9:10], off offset:1024
	ds_read_b128 v[5:8], v20 offset:9216
	s_waitcnt vmcnt(0) lgkmcnt(0)
	v_mul_f64 v[11:12], v[7:8], v[3:4]
	v_mul_f64 v[3:4], v[5:6], v[3:4]
	v_fma_f64 v[124:125], v[5:6], v[1:2], -v[11:12]
	v_add_co_u32_e32 v11, vcc, s35, v0
	v_addc_co_u32_e32 v12, vcc, 0, v17, vcc
	v_fma_f64 v[126:127], v[7:8], v[1:2], v[3:4]
	global_load_dwordx4 v[1:4], v[11:12], off offset:1536
	ds_read_b128 v[5:8], v20 offset:13824
	v_add_co_u32_e32 v92, vcc, s36, v0
	v_addc_co_u32_e32 v93, vcc, 0, v17, vcc
	v_add_co_u32_e32 v90, vcc, s39, v0
	v_addc_co_u32_e32 v91, vcc, 0, v17, vcc
	s_waitcnt vmcnt(0) lgkmcnt(0)
	v_mul_f64 v[13:14], v[7:8], v[3:4]
	v_mul_f64 v[3:4], v[5:6], v[3:4]
	v_fma_f64 v[77:78], v[5:6], v[1:2], -v[13:14]
	v_fma_f64 v[79:80], v[7:8], v[1:2], v[3:4]
	buffer_load_dword v1, off, s[48:51], 0 offset:528 ; 4-byte Folded Reload
	ds_read_b128 v[5:8], v20 offset:18432
	s_waitcnt vmcnt(0)
	global_load_dwordx4 v[1:4], v1, s[24:25]
	s_waitcnt vmcnt(0) lgkmcnt(0)
	v_mul_f64 v[13:14], v[7:8], v[3:4]
	v_mul_f64 v[3:4], v[5:6], v[3:4]
	v_fma_f64 v[73:74], v[5:6], v[1:2], -v[13:14]
	v_fma_f64 v[75:76], v[7:8], v[1:2], v[3:4]
	global_load_dwordx4 v[1:4], v[92:93], off offset:2560
	ds_read_b128 v[5:8], v20 offset:23040
	s_waitcnt vmcnt(0) lgkmcnt(0)
	v_mul_f64 v[13:14], v[7:8], v[3:4]
	v_mul_f64 v[3:4], v[5:6], v[3:4]
	v_fma_f64 v[69:70], v[5:6], v[1:2], -v[13:14]
	v_fma_f64 v[71:72], v[7:8], v[1:2], v[3:4]
	global_load_dwordx4 v[1:4], v[90:91], off offset:3072
	ds_read_b128 v[5:8], v20 offset:27648
	s_waitcnt vmcnt(0) lgkmcnt(0)
	v_mul_f64 v[13:14], v[7:8], v[3:4]
	v_mul_f64 v[3:4], v[5:6], v[3:4]
	v_fma_f64 v[65:66], v[5:6], v[1:2], -v[13:14]
	v_add_co_u32_e32 v13, vcc, s41, v0
	v_addc_co_u32_e32 v14, vcc, 0, v17, vcc
	v_fma_f64 v[67:68], v[7:8], v[1:2], v[3:4]
	global_load_dwordx4 v[1:4], v[13:14], off offset:3584
	ds_read_b128 v[5:8], v20 offset:32256
	v_add_co_u32_e32 v88, vcc, s42, v0
	v_addc_co_u32_e32 v89, vcc, 0, v17, vcc
	s_waitcnt vmcnt(0) lgkmcnt(0)
	v_mul_f64 v[15:16], v[7:8], v[3:4]
	v_mul_f64 v[3:4], v[5:6], v[3:4]
	v_fma_f64 v[61:62], v[5:6], v[1:2], -v[15:16]
	v_fma_f64 v[63:64], v[7:8], v[1:2], v[3:4]
	global_load_dwordx4 v[1:4], v21, s[24:25]
	ds_read_b128 v[5:8], v20 offset:36864
	s_waitcnt vmcnt(0) lgkmcnt(0)
	v_mul_f64 v[15:16], v[7:8], v[3:4]
	v_mul_f64 v[3:4], v[5:6], v[3:4]
	v_fma_f64 v[57:58], v[5:6], v[1:2], -v[15:16]
	v_fma_f64 v[59:60], v[7:8], v[1:2], v[3:4]
	global_load_dwordx4 v[1:4], v[88:89], off offset:512
	ds_read_b128 v[5:8], v20 offset:41472
	s_waitcnt vmcnt(0) lgkmcnt(0)
	v_mul_f64 v[15:16], v[7:8], v[3:4]
	v_mul_f64 v[3:4], v[5:6], v[3:4]
	v_fma_f64 v[53:54], v[5:6], v[1:2], -v[15:16]
	v_fma_f64 v[55:56], v[7:8], v[1:2], v[3:4]
	global_load_dwordx4 v[1:4], v20, s[24:25] offset:1536
	ds_read_b128 v[5:8], v20 offset:1536
	s_waitcnt vmcnt(0) lgkmcnt(0)
	v_mul_f64 v[15:16], v[7:8], v[3:4]
	v_mul_f64 v[3:4], v[5:6], v[3:4]
	v_fma_f64 v[49:50], v[5:6], v[1:2], -v[15:16]
	v_fma_f64 v[51:52], v[7:8], v[1:2], v[3:4]
	buffer_load_dword v1, off, s[48:51], 0 offset:516 ; 4-byte Folded Reload
	ds_read_b128 v[5:8], v20 offset:6144
	s_waitcnt vmcnt(0)
	global_load_dwordx4 v[1:4], v1, s[24:25]
	s_waitcnt vmcnt(0) lgkmcnt(0)
	v_mul_f64 v[15:16], v[7:8], v[3:4]
	v_mul_f64 v[3:4], v[5:6], v[3:4]
	v_fma_f64 v[45:46], v[5:6], v[1:2], -v[15:16]
	v_fma_f64 v[47:48], v[7:8], v[1:2], v[3:4]
	global_load_dwordx4 v[1:4], v[9:10], off offset:2560
	ds_read_b128 v[5:8], v20 offset:10752
	s_waitcnt vmcnt(0) lgkmcnt(0)
	v_mul_f64 v[9:10], v[7:8], v[3:4]
	v_mul_f64 v[3:4], v[5:6], v[3:4]
	v_fma_f64 v[41:42], v[5:6], v[1:2], -v[9:10]
	v_fma_f64 v[43:44], v[7:8], v[1:2], v[3:4]
	global_load_dwordx4 v[1:4], v[11:12], off offset:3072
	ds_read_b128 v[5:8], v20 offset:15360
	s_waitcnt vmcnt(0) lgkmcnt(0)
	v_mul_f64 v[9:10], v[7:8], v[3:4]
	v_mul_f64 v[3:4], v[5:6], v[3:4]
	v_fma_f64 v[37:38], v[5:6], v[1:2], -v[9:10]
	v_add_co_u32_e32 v9, vcc, s37, v0
	v_addc_co_u32_e32 v10, vcc, 0, v17, vcc
	v_fma_f64 v[39:40], v[7:8], v[1:2], v[3:4]
	global_load_dwordx4 v[1:4], v[9:10], off offset:3584
	ds_read_b128 v[5:8], v20 offset:19968
	v_add_co_u32_e32 v94, vcc, s38, v0
	v_addc_co_u32_e32 v95, vcc, 0, v17, vcc
	v_add_co_u32_e32 v96, vcc, s40, v0
	v_addc_co_u32_e32 v97, vcc, 0, v17, vcc
	s_waitcnt vmcnt(0) lgkmcnt(0)
	v_mul_f64 v[11:12], v[7:8], v[3:4]
	v_mul_f64 v[3:4], v[5:6], v[3:4]
	v_fma_f64 v[33:34], v[5:6], v[1:2], -v[11:12]
	v_fma_f64 v[35:36], v[7:8], v[1:2], v[3:4]
	global_load_dwordx4 v[1:4], v123, s[24:25]
	ds_read_b128 v[5:8], v20 offset:24576
	s_waitcnt vmcnt(0) lgkmcnt(0)
	v_mul_f64 v[11:12], v[7:8], v[3:4]
	v_mul_f64 v[3:4], v[5:6], v[3:4]
	v_fma_f64 v[98:99], v[5:6], v[1:2], -v[11:12]
	v_fma_f64 v[100:101], v[7:8], v[1:2], v[3:4]
	global_load_dwordx4 v[1:4], v[13:14], off offset:512
	ds_read_b128 v[5:8], v20 offset:29184
	s_waitcnt vmcnt(0) lgkmcnt(0)
	v_mul_f64 v[11:12], v[7:8], v[3:4]
	v_mul_f64 v[3:4], v[5:6], v[3:4]
	v_fma_f64 v[29:30], v[5:6], v[1:2], -v[11:12]
	v_fma_f64 v[31:32], v[7:8], v[1:2], v[3:4]
	global_load_dwordx4 v[1:4], v[94:95], off offset:1024
	;; [unrolled: 7-line block ×3, first 2 shown]
	ds_read_b128 v[4:7], v20 offset:38400
	s_waitcnt vmcnt(0) lgkmcnt(0)
	v_mul_f64 v[11:12], v[6:7], v[2:3]
	v_mul_f64 v[2:3], v[4:5], v[2:3]
	v_fma_f64 v[21:22], v[4:5], v[0:1], -v[11:12]
	v_fma_f64 v[23:24], v[6:7], v[0:1], v[2:3]
	global_load_dwordx4 v[0:3], v122, s[24:25]
	ds_read_b128 v[4:7], v20 offset:43008
	s_waitcnt vmcnt(0) lgkmcnt(0)
	v_mul_f64 v[11:12], v[6:7], v[2:3]
	v_mul_f64 v[2:3], v[4:5], v[2:3]
	v_fma_f64 v[16:17], v[4:5], v[0:1], -v[11:12]
	v_fma_f64 v[18:19], v[6:7], v[0:1], v[2:3]
	ds_read_b128 v[0:3], v20 offset:3072
	s_waitcnt lgkmcnt(0)
	v_mul_f64 v[4:5], v[2:3], v[104:105]
	v_mul_f64 v[6:7], v[0:1], v[104:105]
	v_fma_f64 v[12:13], v[0:1], v[102:103], -v[4:5]
	v_fma_f64 v[14:15], v[2:3], v[102:103], v[6:7]
	global_load_dwordx4 v[102:105], v[84:85], off offset:3584
	ds_read_b128 v[84:87], v20 offset:7680
	s_waitcnt vmcnt(0) lgkmcnt(0)
	v_mul_f64 v[0:1], v[86:87], v[104:105]
	v_mul_f64 v[2:3], v[84:85], v[104:105]
	v_fma_f64 v[84:85], v[84:85], v[102:103], -v[0:1]
	buffer_load_dword v0, off, s[48:51], 0 offset:520 ; 4-byte Folded Reload
	v_fma_f64 v[86:87], v[86:87], v[102:103], v[2:3]
	s_waitcnt vmcnt(0)
	global_load_dwordx4 v[102:105], v0, s[24:25]
	s_waitcnt vmcnt(0)
	v_mul_f64 v[0:1], v[108:109], v[104:105]
	v_mul_f64 v[2:3], v[106:107], v[104:105]
	v_fma_f64 v[104:105], v[106:107], v[102:103], -v[0:1]
	v_fma_f64 v[106:107], v[108:109], v[102:103], v[2:3]
	global_load_dwordx4 v[108:111], v[9:10], off offset:512
	s_waitcnt vmcnt(0)
	v_mul_f64 v[0:1], v[114:115], v[110:111]
	v_mul_f64 v[2:3], v[112:113], v[110:111]
	v_fma_f64 v[110:111], v[112:113], v[108:109], -v[0:1]
	v_fma_f64 v[112:113], v[114:115], v[108:109], v[2:3]
	global_load_dwordx4 v[114:117], v[92:93], off offset:1024
	s_waitcnt vmcnt(0)
	v_mul_f64 v[0:1], v[120:121], v[116:117]
	global_load_dwordx4 v[90:93], v[90:91], off offset:1536
	v_mul_f64 v[2:3], v[118:119], v[116:117]
	v_fma_f64 v[116:117], v[118:119], v[114:115], -v[0:1]
	v_fma_f64 v[118:119], v[120:121], v[114:115], v[2:3]
	ds_read_b128 v[120:123], v20 offset:26112
	s_waitcnt vmcnt(0) lgkmcnt(0)
	v_mul_f64 v[0:1], v[122:123], v[92:93]
	v_mul_f64 v[2:3], v[120:121], v[92:93]
	v_fma_f64 v[120:121], v[120:121], v[90:91], -v[0:1]
	buffer_load_dword v0, off, s[48:51], 0 offset:524 ; 4-byte Folded Reload
	v_fma_f64 v[122:123], v[122:123], v[90:91], v[2:3]
	s_waitcnt vmcnt(0)
	global_load_dwordx4 v[90:93], v0, s[24:25]
	ds_read_b128 v[0:3], v20 offset:30720
	s_waitcnt vmcnt(0) lgkmcnt(0)
	v_mul_f64 v[4:5], v[2:3], v[92:93]
	v_mul_f64 v[6:7], v[0:1], v[92:93]
	v_fma_f64 v[8:9], v[0:1], v[90:91], -v[4:5]
	v_fma_f64 v[10:11], v[2:3], v[90:91], v[6:7]
	global_load_dwordx4 v[90:93], v[94:95], off offset:2560
	ds_read_b128 v[0:3], v20 offset:35328
	s_waitcnt vmcnt(0) lgkmcnt(0)
	v_mul_f64 v[4:5], v[2:3], v[92:93]
	v_mul_f64 v[6:7], v[0:1], v[92:93]
	v_fma_f64 v[4:5], v[0:1], v[90:91], -v[4:5]
	v_fma_f64 v[6:7], v[2:3], v[90:91], v[6:7]
	global_load_dwordx4 v[90:93], v[96:97], off offset:3072
	;; [unrolled: 7-line block ×3, first 2 shown]
	ds_read_b128 v[0:3], v20 offset:44544
	s_waitcnt vmcnt(0) lgkmcnt(0)
	v_mul_f64 v[81:82], v[2:3], v[90:91]
	v_mul_f64 v[90:91], v[0:1], v[90:91]
	v_fma_f64 v[0:1], v[0:1], v[88:89], -v[81:82]
	v_fma_f64 v[2:3], v[2:3], v[88:89], v[90:91]
	ds_write_b128 v20, v[132:135]
	ds_write_b128 v20, v[128:131] offset:4608
	ds_write_b128 v20, v[124:127] offset:9216
	;; [unrolled: 1-line block ×29, first 2 shown]
	s_waitcnt lgkmcnt(0)
	s_barrier
	ds_read_b128 v[0:3], v20
	ds_read_b128 v[4:7], v20 offset:9216
	ds_read_b128 v[8:11], v20 offset:18432
	s_waitcnt lgkmcnt(1)
	v_add_f64 v[12:13], v[0:1], v[4:5]
	s_waitcnt lgkmcnt(0)
	v_add_f64 v[25:26], v[4:5], -v[8:9]
	v_add_f64 v[27:28], v[8:9], -v[4:5]
	;; [unrolled: 1-line block ×4, first 2 shown]
	v_add_f64 v[16:17], v[12:13], v[8:9]
	v_add_f64 v[12:13], v[2:3], v[6:7]
	;; [unrolled: 1-line block ×3, first 2 shown]
	ds_read_b128 v[12:15], v20 offset:27648
	s_waitcnt lgkmcnt(0)
	v_add_f64 v[21:22], v[8:9], v[12:13]
	v_add_f64 v[23:24], v[10:11], -v[14:15]
	v_add_f64 v[29:30], v[10:11], v[14:15]
	v_add_f64 v[31:32], v[8:9], -v[12:13]
	ds_read_b128 v[8:11], v20 offset:36864
	v_fma_f64 v[21:22], v[21:22], -0.5, v[0:1]
	s_waitcnt lgkmcnt(0)
	v_add_f64 v[37:38], v[6:7], -v[10:11]
	v_add_f64 v[39:40], v[4:5], v[8:9]
	v_add_f64 v[41:42], v[4:5], -v[8:9]
	v_add_f64 v[43:44], v[6:7], v[10:11]
	v_add_f64 v[4:5], v[16:17], v[12:13]
	;; [unrolled: 1-line block ×3, first 2 shown]
	v_add_f64 v[45:46], v[8:9], -v[12:13]
	v_add_f64 v[47:48], v[12:13], -v[8:9]
	;; [unrolled: 1-line block ×4, first 2 shown]
	v_fma_f64 v[29:30], v[29:30], -0.5, v[2:3]
	v_fma_f64 v[2:3], v[43:44], -0.5, v[2:3]
	v_add_f64 v[53:54], v[4:5], v[8:9]
	v_add_f64 v[55:56], v[6:7], v[10:11]
	ds_read_b128 v[4:7], v20 offset:4608
	ds_read_b128 v[8:11], v20 offset:13824
	;; [unrolled: 1-line block ×3, first 2 shown]
	v_fma_f64 v[0:1], v[39:40], -0.5, v[0:1]
	v_add_f64 v[27:28], v[27:28], v[47:48]
	s_waitcnt lgkmcnt(1)
	v_add_f64 v[16:17], v[4:5], v[8:9]
	s_waitcnt lgkmcnt(0)
	v_add_f64 v[65:66], v[8:9], -v[12:13]
	v_add_f64 v[67:68], v[12:13], -v[8:9]
	;; [unrolled: 1-line block ×4, first 2 shown]
	v_add_f64 v[57:58], v[16:17], v[12:13]
	v_add_f64 v[16:17], v[6:7], v[10:11]
	;; [unrolled: 1-line block ×3, first 2 shown]
	ds_read_b128 v[16:19], v20 offset:32256
	s_waitcnt lgkmcnt(0)
	v_add_f64 v[69:70], v[14:15], v[18:19]
	v_add_f64 v[57:58], v[57:58], v[16:17]
	;; [unrolled: 1-line block ×3, first 2 shown]
	v_add_f64 v[63:64], v[14:15], -v[18:19]
	v_add_f64 v[71:72], v[12:13], -v[16:17]
	ds_read_b128 v[12:15], v20 offset:41472
	v_add_f64 v[59:60], v[59:60], v[18:19]
	v_fma_f64 v[43:44], v[69:70], -0.5, v[6:7]
	s_waitcnt lgkmcnt(0)
	v_add_f64 v[79:80], v[8:9], v[12:13]
	v_add_f64 v[8:9], v[8:9], -v[12:13]
	v_add_f64 v[81:82], v[12:13], -v[16:17]
	;; [unrolled: 1-line block ×3, first 2 shown]
	v_add_f64 v[12:13], v[57:58], v[12:13]
	v_add_f64 v[77:78], v[10:11], -v[14:15]
	v_add_f64 v[10:11], v[10:11], v[14:15]
	v_add_f64 v[83:84], v[14:15], -v[18:19]
	v_fma_f64 v[39:40], v[61:62], -0.5, v[4:5]
	v_add_f64 v[18:19], v[18:19], -v[14:15]
	v_add_f64 v[14:15], v[59:60], v[14:15]
	v_fma_f64 v[4:5], v[79:80], -0.5, v[4:5]
	v_add_f64 v[120:121], v[53:54], v[12:13]
	v_add_f64 v[116:117], v[53:54], -v[12:13]
	v_add_f64 v[12:13], v[33:34], v[49:50]
	v_fma_f64 v[33:34], v[8:9], s[14:15], v[43:44]
	v_fma_f64 v[6:7], v[10:11], -0.5, v[6:7]
	v_add_f64 v[10:11], v[25:26], v[45:46]
	v_add_f64 v[25:26], v[73:74], v[83:84]
	v_fma_f64 v[45:46], v[77:78], s[18:19], v[39:40]
	v_add_f64 v[122:123], v[55:56], v[14:15]
	v_add_f64 v[118:119], v[55:56], -v[14:15]
	v_add_f64 v[14:15], v[65:66], v[81:82]
	v_fma_f64 v[33:34], v[71:72], s[16:17], v[33:34]
	v_fma_f64 v[53:54], v[41:42], s[14:15], v[29:30]
	v_add_f64 v[18:19], v[75:76], v[18:19]
	v_add_f64 v[16:17], v[67:68], v[16:17]
	v_fma_f64 v[45:46], v[63:64], s[22:23], v[45:46]
	v_fma_f64 v[33:34], v[25:26], s[20:21], v[33:34]
	;; [unrolled: 1-line block ×4, first 2 shown]
	v_mul_f64 v[49:50], v[33:34], s[22:23]
	v_fma_f64 v[53:54], v[12:13], s[20:21], v[53:54]
	v_fma_f64 v[49:50], v[45:46], s[30:31], v[49:50]
	v_mul_f64 v[45:46], v[45:46], s[16:17]
	v_fma_f64 v[33:34], v[33:34], s[30:31], v[45:46]
	v_fma_f64 v[45:46], v[37:38], s[18:19], v[21:22]
	v_add_f64 v[110:111], v[53:54], v[33:34]
	v_fma_f64 v[45:46], v[23:24], s[22:23], v[45:46]
	v_add_f64 v[114:115], v[53:54], -v[33:34]
	v_add_f64 v[33:34], v[35:36], v[51:52]
	v_fma_f64 v[35:36], v[71:72], s[18:19], v[6:7]
	v_fma_f64 v[6:7], v[71:72], s[14:15], v[6:7]
	;; [unrolled: 1-line block ×5, first 2 shown]
	v_add_f64 v[108:109], v[45:46], v[49:50]
	v_add_f64 v[112:113], v[45:46], -v[49:50]
	v_fma_f64 v[45:46], v[63:64], s[14:15], v[4:5]
	v_fma_f64 v[35:36], v[18:19], s[20:21], v[35:36]
	;; [unrolled: 1-line block ×7, first 2 shown]
	v_mul_f64 v[47:48], v[35:36], s[18:19]
	v_mul_f64 v[35:36], v[35:36], s[20:21]
	v_fma_f64 v[4:5], v[77:78], s[16:17], v[4:5]
	v_fma_f64 v[49:50], v[41:42], s[16:17], v[49:50]
	;; [unrolled: 1-line block ×5, first 2 shown]
	v_mul_f64 v[16:17], v[6:7], s[18:19]
	v_mul_f64 v[6:7], v[6:7], s[28:29]
	v_fma_f64 v[2:3], v[33:34], s[20:21], v[2:3]
	v_fma_f64 v[49:50], v[33:34], s[20:21], v[49:50]
	v_fma_f64 v[47:48], v[45:46], s[20:21], v[47:48]
	v_fma_f64 v[35:36], v[45:46], s[14:15], v[35:36]
	v_fma_f64 v[45:46], v[23:24], s[14:15], v[0:1]
	v_fma_f64 v[0:1], v[23:24], s[18:19], v[0:1]
	v_fma_f64 v[16:17], v[4:5], s[28:29], v[16:17]
	v_fma_f64 v[4:5], v[4:5], s[14:15], v[6:7]
	v_fma_f64 v[6:7], v[77:78], s[14:15], v[39:40]
	v_add_f64 v[102:103], v[49:50], v[35:36]
	v_fma_f64 v[45:46], v[37:38], s[22:23], v[45:46]
	v_fma_f64 v[0:1], v[37:38], s[16:17], v[0:1]
	v_add_f64 v[106:107], v[49:50], -v[35:36]
	v_add_f64 v[94:95], v[2:3], v[4:5]
	v_add_f64 v[98:99], v[2:3], -v[4:5]
	v_fma_f64 v[2:3], v[37:38], s[14:15], v[21:22]
	v_fma_f64 v[4:5], v[41:42], s[18:19], v[29:30]
	;; [unrolled: 1-line block ×8, first 2 shown]
	v_add_f64 v[100:101], v[45:46], v[47:48]
	v_add_f64 v[92:93], v[0:1], v[16:17]
	v_add_f64 v[96:97], v[0:1], -v[16:17]
	v_fma_f64 v[0:1], v[8:9], s[18:19], v[43:44]
	v_add_f64 v[104:105], v[45:46], -v[47:48]
	v_fma_f64 v[2:3], v[10:11], s[20:21], v[2:3]
	v_fma_f64 v[4:5], v[12:13], s[20:21], v[4:5]
	;; [unrolled: 1-line block ×4, first 2 shown]
	v_mul_f64 v[8:9], v[0:1], s[22:23]
	v_mul_f64 v[0:1], v[0:1], s[26:27]
	v_fma_f64 v[8:9], v[6:7], s[26:27], v[8:9]
	v_fma_f64 v[0:1], v[6:7], s[16:17], v[0:1]
	v_add_f64 v[84:85], v[2:3], v[8:9]
	v_add_f64 v[86:87], v[4:5], v[0:1]
	v_add_f64 v[88:89], v[2:3], -v[8:9]
	v_add_f64 v[90:91], v[4:5], -v[0:1]
	ds_read_b128 v[72:75], v20 offset:1536
	ds_read_b128 v[68:71], v20 offset:6144
	;; [unrolled: 1-line block ×20, first 2 shown]
	s_waitcnt lgkmcnt(14)
	v_add_f64 v[25:26], v[72:73], v[4:5]
	s_waitcnt lgkmcnt(0)
	s_barrier
	ds_write_b128 v186, v[120:123]
	ds_write_b128 v186, v[108:111] offset:16
	ds_write_b128 v186, v[100:103] offset:32
	;; [unrolled: 1-line block ×9, first 2 shown]
	v_add_f64 v[84:85], v[74:75], v[6:7]
	v_add_f64 v[86:87], v[0:1], v[8:9]
	v_add_f64 v[90:91], v[4:5], -v[0:1]
	v_add_f64 v[25:26], v[25:26], v[0:1]
	v_add_f64 v[92:93], v[0:1], -v[4:5]
	v_add_f64 v[96:97], v[0:1], -v[8:9]
	v_add_f64 v[0:1], v[4:5], v[12:13]
	v_add_f64 v[104:105], v[4:5], -v[12:13]
	v_add_f64 v[84:85], v[84:85], v[2:3]
	;; [unrolled: 2-line block ×3, first 2 shown]
	v_add_f64 v[4:5], v[25:26], v[8:9]
	v_add_f64 v[98:99], v[6:7], -v[2:3]
	v_add_f64 v[100:101], v[2:3], -v[6:7]
	;; [unrolled: 1-line block ×3, first 2 shown]
	v_add_f64 v[2:3], v[6:7], v[14:15]
	v_add_f64 v[6:7], v[84:85], v[10:11]
	v_add_f64 v[25:26], v[12:13], -v[8:9]
	v_add_f64 v[84:85], v[8:9], -v[12:13]
	v_add_f64 v[4:5], v[4:5], v[12:13]
	v_add_f64 v[12:13], v[70:71], v[23:24]
	v_add_f64 v[8:9], v[14:15], -v[10:11]
	v_add_f64 v[106:107], v[10:11], -v[14:15]
	v_add_f64 v[10:11], v[68:69], v[21:22]
	v_add_f64 v[114:115], v[18:19], v[78:79]
	v_add_f64 v[6:7], v[6:7], v[14:15]
	v_add_f64 v[14:15], v[16:17], v[76:77]
	v_add_f64 v[108:109], v[18:19], -v[78:79]
	v_add_f64 v[12:13], v[12:13], v[18:19]
	v_add_f64 v[110:111], v[21:22], -v[16:17]
	v_add_f64 v[112:113], v[16:17], -v[21:22]
	v_add_f64 v[10:11], v[10:11], v[16:17]
	v_add_f64 v[118:119], v[23:24], -v[82:83]
	v_add_f64 v[120:121], v[21:22], v[80:81]
	;; [unrolled: 2-line block ×3, first 2 shown]
	v_add_f64 v[12:13], v[12:13], v[78:79]
	v_add_f64 v[124:125], v[82:83], -v[78:79]
	v_add_f64 v[78:79], v[78:79], -v[82:83]
	v_add_f64 v[10:11], v[10:11], v[76:77]
	v_add_f64 v[116:117], v[16:17], -v[76:77]
	v_add_f64 v[16:17], v[23:24], -v[18:19]
	;; [unrolled: 1-line block ×4, first 2 shown]
	v_add_f64 v[12:13], v[12:13], v[82:83]
	v_fma_f64 v[82:83], v[94:95], -0.5, v[74:75]
	v_fma_f64 v[94:95], v[114:115], -0.5, v[70:71]
	v_add_f64 v[76:77], v[76:77], -v[80:81]
	v_add_f64 v[10:11], v[10:11], v[80:81]
	v_fma_f64 v[80:81], v[86:87], -0.5, v[72:73]
	v_fma_f64 v[86:87], v[14:15], -0.5, v[68:69]
	v_add_f64 v[25:26], v[90:91], v[25:26]
	v_add_f64 v[90:91], v[98:99], v[8:9]
	v_fma_f64 v[72:73], v[0:1], -0.5, v[72:73]
	v_fma_f64 v[8:9], v[122:123], s[14:15], v[94:95]
	v_add_f64 v[98:99], v[110:111], v[23:24]
	v_add_f64 v[0:1], v[4:5], v[10:11]
	v_add_f64 v[4:5], v[4:5], -v[10:11]
	v_add_f64 v[110:111], v[16:17], v[124:125]
	v_fma_f64 v[10:11], v[118:119], s[18:19], v[86:87]
	v_fma_f64 v[74:75], v[2:3], -0.5, v[74:75]
	v_add_f64 v[2:3], v[6:7], v[12:13]
	v_fma_f64 v[8:9], v[116:117], s[16:17], v[8:9]
	v_add_f64 v[6:7], v[6:7], -v[12:13]
	v_fma_f64 v[70:71], v[21:22], -0.5, v[70:71]
	v_fma_f64 v[68:69], v[120:121], -0.5, v[68:69]
	v_add_f64 v[78:79], v[18:19], v[78:79]
	v_fma_f64 v[10:11], v[108:109], s[22:23], v[10:11]
	v_add_f64 v[76:77], v[112:113], v[76:77]
	v_add_f64 v[84:85], v[92:93], v[84:85]
	v_fma_f64 v[8:9], v[110:111], s[20:21], v[8:9]
	v_add_f64 v[92:93], v[100:101], v[106:107]
	v_fma_f64 v[18:19], v[108:109], s[14:15], v[68:69]
	v_fma_f64 v[68:69], v[108:109], s[18:19], v[68:69]
	;; [unrolled: 1-line block ×3, first 2 shown]
	v_mul_f64 v[12:13], v[8:9], s[22:23]
	v_fma_f64 v[18:19], v[118:119], s[22:23], v[18:19]
	v_fma_f64 v[68:69], v[118:119], s[16:17], v[68:69]
	;; [unrolled: 1-line block ×3, first 2 shown]
	v_mul_f64 v[10:11], v[10:11], s[16:17]
	v_fma_f64 v[18:19], v[76:77], s[20:21], v[18:19]
	v_fma_f64 v[68:69], v[76:77], s[20:21], v[68:69]
	;; [unrolled: 1-line block ×9, first 2 shown]
	v_add_f64 v[8:9], v[16:17], v[12:13]
	v_add_f64 v[12:13], v[16:17], -v[12:13]
	v_fma_f64 v[16:17], v[116:117], s[18:19], v[70:71]
	v_fma_f64 v[70:71], v[116:117], s[14:15], v[70:71]
	v_add_f64 v[10:11], v[21:22], v[14:15]
	v_add_f64 v[14:15], v[21:22], -v[14:15]
	v_fma_f64 v[16:17], v[122:123], s[16:17], v[16:17]
	v_fma_f64 v[70:71], v[122:123], s[22:23], v[70:71]
	v_fma_f64 v[16:17], v[78:79], s[20:21], v[16:17]
	v_fma_f64 v[70:71], v[78:79], s[20:21], v[70:71]
	v_mul_f64 v[21:22], v[16:17], s[18:19]
	v_mul_f64 v[16:17], v[16:17], s[20:21]
	;; [unrolled: 1-line block ×4, first 2 shown]
	v_fma_f64 v[21:22], v[18:19], s[20:21], v[21:22]
	v_fma_f64 v[23:24], v[18:19], s[14:15], v[16:17]
	;; [unrolled: 1-line block ×16, first 2 shown]
	v_add_f64 v[16:17], v[100:101], v[21:22]
	v_add_f64 v[68:69], v[72:73], v[76:77]
	v_add_f64 v[72:73], v[72:73], -v[76:77]
	v_fma_f64 v[76:77], v[122:123], s[18:19], v[94:95]
	v_add_f64 v[70:71], v[74:75], v[78:79]
	v_add_f64 v[74:75], v[74:75], -v[78:79]
	v_fma_f64 v[78:79], v[102:103], s[14:15], v[80:81]
	v_fma_f64 v[80:81], v[104:105], s[18:19], v[82:83]
	;; [unrolled: 1-line block ×3, first 2 shown]
	v_add_f64 v[18:19], v[106:107], v[23:24]
	v_add_f64 v[21:22], v[100:101], -v[21:22]
	v_fma_f64 v[76:77], v[116:117], s[22:23], v[76:77]
	v_add_f64 v[23:24], v[106:107], -v[23:24]
	v_fma_f64 v[78:79], v[88:89], s[16:17], v[78:79]
	v_fma_f64 v[80:81], v[96:97], s[22:23], v[80:81]
	;; [unrolled: 1-line block ×7, first 2 shown]
	v_mul_f64 v[80:81], v[76:77], s[22:23]
	v_mul_f64 v[76:77], v[76:77], s[26:27]
	v_fma_f64 v[80:81], v[78:79], s[26:27], v[80:81]
	v_fma_f64 v[82:83], v[78:79], s[16:17], v[76:77]
	v_add_f64 v[76:77], v[25:26], v[80:81]
	v_add_f64 v[78:79], v[84:85], v[82:83]
	v_add_f64 v[80:81], v[25:26], -v[80:81]
	v_add_f64 v[82:83], v[84:85], -v[82:83]
	ds_write_b128 v185, v[0:3]
	ds_write_b128 v185, v[8:11] offset:16
	ds_write_b128 v185, v[16:19] offset:32
	;; [unrolled: 1-line block ×9, first 2 shown]
	v_add_f64 v[0:1], v[60:61], v[32:33]
	v_add_f64 v[2:3], v[62:63], v[34:35]
	v_add_f64 v[12:13], v[32:33], v[28:29]
	v_add_f64 v[70:71], v[32:33], -v[28:29]
	v_add_f64 v[21:22], v[28:29], -v[40:41]
	;; [unrolled: 1-line block ×5, first 2 shown]
	v_add_f64 v[0:1], v[0:1], v[36:37]
	v_add_f64 v[2:3], v[2:3], v[38:39]
	v_add_f64 v[16:17], v[36:37], -v[32:33]
	v_add_f64 v[6:7], v[38:39], v[42:43]
	v_add_f64 v[10:11], v[34:35], -v[38:39]
	v_add_f64 v[18:19], v[38:39], -v[34:35]
	;; [unrolled: 1-line block ×3, first 2 shown]
	v_add_f64 v[14:15], v[34:35], v[30:31]
	v_add_f64 v[0:1], v[0:1], v[40:41]
	v_add_f64 v[2:3], v[2:3], v[42:43]
	v_add_f64 v[25:26], v[30:31], -v[42:43]
	v_add_f64 v[32:33], v[42:43], -v[30:31]
	v_add_f64 v[74:75], v[46:47], v[58:59]
	v_add_f64 v[4:5], v[36:37], v[40:41]
	;; [unrolled: 1-line block ×3, first 2 shown]
	v_add_f64 v[42:43], v[48:49], -v[44:45]
	v_add_f64 v[27:28], v[0:1], v[28:29]
	v_add_f64 v[0:1], v[64:65], v[48:49]
	;; [unrolled: 1-line block ×4, first 2 shown]
	v_add_f64 v[72:73], v[44:45], -v[48:49]
	v_add_f64 v[80:81], v[48:49], v[52:53]
	v_add_f64 v[48:49], v[48:49], -v[52:53]
	v_add_f64 v[82:83], v[52:53], -v[56:57]
	v_fma_f64 v[74:75], v[74:75], -0.5, v[66:67]
	v_add_f64 v[0:1], v[0:1], v[44:45]
	v_add_f64 v[44:45], v[44:45], -v[56:57]
	v_add_f64 v[2:3], v[2:3], v[46:47]
	v_add_f64 v[36:37], v[36:37], -v[40:41]
	v_add_f64 v[40:41], v[46:47], -v[58:59]
	;; [unrolled: 1-line block ×5, first 2 shown]
	v_add_f64 v[0:1], v[0:1], v[56:57]
	v_add_f64 v[56:57], v[56:57], -v[52:53]
	v_add_f64 v[2:3], v[2:3], v[58:59]
	v_add_f64 v[50:51], v[50:51], v[54:55]
	v_add_f64 v[84:85], v[54:55], -v[58:59]
	v_add_f64 v[58:59], v[58:59], -v[54:55]
	v_fma_f64 v[86:87], v[4:5], -0.5, v[60:61]
	v_fma_f64 v[34:35], v[34:35], -0.5, v[64:65]
	v_add_f64 v[52:53], v[0:1], v[52:53]
	v_fma_f64 v[88:89], v[6:7], -0.5, v[62:63]
	v_add_f64 v[54:55], v[2:3], v[54:55]
	v_fma_f64 v[50:51], v[50:51], -0.5, v[66:67]
	v_add_f64 v[66:67], v[76:77], v[84:85]
	v_add_f64 v[42:43], v[42:43], v[82:83]
	v_fma_f64 v[60:61], v[12:13], -0.5, v[60:61]
	v_fma_f64 v[62:63], v[14:15], -0.5, v[62:63]
	v_add_f64 v[0:1], v[27:28], v[52:53]
	v_add_f64 v[4:5], v[27:28], -v[52:53]
	v_add_f64 v[52:53], v[8:9], v[21:22]
	v_fma_f64 v[8:9], v[48:49], s[14:15], v[74:75]
	v_add_f64 v[2:3], v[29:30], v[54:55]
	v_add_f64 v[6:7], v[29:30], -v[54:55]
	v_add_f64 v[54:55], v[10:11], v[25:26]
	v_fma_f64 v[10:11], v[78:79], s[18:19], v[34:35]
	v_fma_f64 v[64:65], v[80:81], -0.5, v[64:65]
	v_add_f64 v[27:28], v[18:19], v[32:33]
	v_add_f64 v[31:32], v[46:47], v[58:59]
	v_fma_f64 v[8:9], v[44:45], s[16:17], v[8:9]
	v_add_f64 v[29:30], v[72:73], v[56:57]
	v_fma_f64 v[33:34], v[78:79], s[14:15], v[34:35]
	v_fma_f64 v[10:11], v[40:41], s[22:23], v[10:11]
	;; [unrolled: 1-line block ×7, first 2 shown]
	v_mul_f64 v[12:13], v[8:9], s[22:23]
	v_fma_f64 v[33:34], v[42:43], s[20:21], v[33:34]
	v_fma_f64 v[18:19], v[29:30], s[20:21], v[18:19]
	;; [unrolled: 1-line block ×3, first 2 shown]
	v_mul_f64 v[10:11], v[10:11], s[16:17]
	v_fma_f64 v[14:15], v[8:9], s[30:31], v[10:11]
	v_fma_f64 v[10:11], v[70:71], s[14:15], v[88:89]
	v_fma_f64 v[8:9], v[38:39], s[18:19], v[86:87]
	v_fma_f64 v[10:11], v[36:37], s[16:17], v[10:11]
	v_fma_f64 v[8:9], v[68:69], s[22:23], v[8:9]
	v_fma_f64 v[25:26], v[54:55], s[20:21], v[10:11]
	v_fma_f64 v[21:22], v[52:53], s[20:21], v[8:9]
	v_add_f64 v[10:11], v[25:26], v[14:15]
	v_add_f64 v[14:15], v[25:26], -v[14:15]
	v_add_f64 v[25:26], v[16:17], v[23:24]
	v_fma_f64 v[16:17], v[44:45], s[18:19], v[50:51]
	v_add_f64 v[8:9], v[21:22], v[12:13]
	v_add_f64 v[12:13], v[21:22], -v[12:13]
	v_fma_f64 v[16:17], v[48:49], s[16:17], v[16:17]
	v_fma_f64 v[16:17], v[31:32], s[20:21], v[16:17]
	v_mul_f64 v[21:22], v[16:17], s[18:19]
	v_mul_f64 v[16:17], v[16:17], s[20:21]
	v_fma_f64 v[21:22], v[18:19], s[20:21], v[21:22]
	v_fma_f64 v[23:24], v[18:19], s[14:15], v[16:17]
	;; [unrolled: 1-line block ×8, first 2 shown]
	v_add_f64 v[16:17], v[46:47], v[21:22]
	v_add_f64 v[21:22], v[46:47], -v[21:22]
	v_fma_f64 v[46:47], v[68:69], s[18:19], v[60:61]
	v_add_f64 v[18:19], v[56:57], v[23:24]
	v_add_f64 v[23:24], v[56:57], -v[23:24]
	v_fma_f64 v[46:47], v[38:39], s[16:17], v[46:47]
	v_fma_f64 v[38:39], v[38:39], s[14:15], v[86:87]
	;; [unrolled: 1-line block ×13, first 2 shown]
	v_mul_f64 v[29:30], v[25:26], s[18:19]
	v_mul_f64 v[25:26], v[25:26], s[28:29]
	v_fma_f64 v[29:30], v[27:28], s[28:29], v[29:30]
	v_fma_f64 v[31:32], v[27:28], s[14:15], v[25:26]
	v_add_f64 v[25:26], v[46:47], v[29:30]
	v_add_f64 v[29:30], v[46:47], -v[29:30]
	v_fma_f64 v[46:47], v[48:49], s[18:19], v[74:75]
	v_fma_f64 v[48:49], v[70:71], s[18:19], v[88:89]
	v_add_f64 v[27:28], v[56:57], v[31:32]
	v_add_f64 v[31:32], v[56:57], -v[31:32]
	v_fma_f64 v[44:45], v[44:45], s[22:23], v[46:47]
	v_fma_f64 v[35:36], v[36:37], s[22:23], v[48:49]
	;; [unrolled: 1-line block ×5, first 2 shown]
	v_mul_f64 v[35:36], v[40:41], s[22:23]
	v_mul_f64 v[39:40], v[40:41], s[26:27]
	v_fma_f64 v[41:42], v[33:34], s[26:27], v[35:36]
	v_fma_f64 v[39:40], v[33:34], s[16:17], v[39:40]
	v_add_f64 v[33:34], v[37:38], v[41:42]
	v_add_f64 v[35:36], v[44:45], v[39:40]
	v_add_f64 v[37:38], v[37:38], -v[41:42]
	v_add_f64 v[39:40], v[44:45], -v[39:40]
	ds_write_b128 v184, v[0:3]
	ds_write_b128 v184, v[8:11] offset:16
	ds_write_b128 v184, v[16:19] offset:32
	ds_write_b128 v184, v[25:28] offset:48
	ds_write_b128 v184, v[33:36] offset:64
	ds_write_b128 v184, v[4:7] offset:80
	ds_write_b128 v184, v[12:15] offset:96
	ds_write_b128 v184, v[21:24] offset:112
	ds_write_b128 v184, v[29:32] offset:128
	ds_write_b128 v184, v[37:40] offset:144
	s_waitcnt lgkmcnt(0)
	s_barrier
	ds_read_b128 v[0:3], v20 offset:7680
	buffer_load_dword v6, off, s[48:51], 0 offset:712 ; 4-byte Folded Reload
	buffer_load_dword v7, off, s[48:51], 0 offset:716 ; 4-byte Folded Reload
	buffer_load_dword v8, off, s[48:51], 0 offset:720 ; 4-byte Folded Reload
	buffer_load_dword v9, off, s[48:51], 0 offset:724 ; 4-byte Folded Reload
	s_waitcnt vmcnt(0) lgkmcnt(0)
	v_mul_f64 v[4:5], v[8:9], v[2:3]
	v_fma_f64 v[4:5], v[6:7], v[0:1], v[4:5]
	v_mul_f64 v[0:1], v[8:9], v[0:1]
	v_fma_f64 v[6:7], v[6:7], v[2:3], -v[0:1]
	ds_read_b128 v[0:3], v20 offset:15360
	buffer_load_dword v10, off, s[48:51], 0 offset:680 ; 4-byte Folded Reload
	buffer_load_dword v11, off, s[48:51], 0 offset:684 ; 4-byte Folded Reload
	buffer_load_dword v12, off, s[48:51], 0 offset:688 ; 4-byte Folded Reload
	buffer_load_dword v13, off, s[48:51], 0 offset:692 ; 4-byte Folded Reload
	s_waitcnt vmcnt(0) lgkmcnt(0)
	v_mul_f64 v[8:9], v[12:13], v[2:3]
	v_fma_f64 v[8:9], v[10:11], v[0:1], v[8:9]
	v_mul_f64 v[0:1], v[12:13], v[0:1]
	v_fma_f64 v[10:11], v[10:11], v[2:3], -v[0:1]
	;; [unrolled: 10-line block ×24, first 2 shown]
	ds_read_b128 v[0:3], v20 offset:44544
	buffer_load_dword v14, off, s[48:51], 0 offset:1008 ; 4-byte Folded Reload
	buffer_load_dword v15, off, s[48:51], 0 offset:1012 ; 4-byte Folded Reload
	;; [unrolled: 1-line block ×4, first 2 shown]
	s_waitcnt vmcnt(0) lgkmcnt(0)
	v_mul_f64 v[12:13], v[16:17], v[2:3]
	v_fma_f64 v[58:59], v[14:15], v[0:1], v[12:13]
	v_mul_f64 v[0:1], v[16:17], v[0:1]
	v_add_f64 v[12:13], v[8:9], v[25:26]
	v_fma_f64 v[56:57], v[14:15], v[2:3], -v[0:1]
	ds_read_b128 v[0:3], v20
	s_waitcnt lgkmcnt(0)
	v_fma_f64 v[33:34], v[12:13], -0.5, v[0:1]
	v_add_f64 v[12:13], v[10:11], v[27:28]
	v_add_f64 v[0:1], v[0:1], v[8:9]
	v_add_f64 v[8:9], v[8:9], -v[25:26]
	v_fma_f64 v[35:36], v[12:13], -0.5, v[2:3]
	v_add_f64 v[12:13], v[4:5], v[21:22]
	v_add_f64 v[2:3], v[2:3], v[10:11]
	;; [unrolled: 1-line block ×3, first 2 shown]
	v_add_f64 v[10:11], v[10:11], -v[27:28]
	v_fma_f64 v[37:38], v[8:9], s[6:7], v[35:36]
	v_add_f64 v[16:17], v[12:13], v[29:30]
	v_add_f64 v[12:13], v[6:7], v[23:24]
	;; [unrolled: 1-line block ×3, first 2 shown]
	v_fma_f64 v[8:9], v[8:9], s[12:13], v[35:36]
	v_add_f64 v[18:19], v[12:13], v[31:32]
	v_add_f64 v[12:13], v[0:1], v[16:17]
	v_add_f64 v[16:17], v[0:1], -v[16:17]
	v_add_f64 v[0:1], v[23:24], v[31:32]
	v_add_f64 v[14:15], v[2:3], v[18:19]
	v_add_f64 v[18:19], v[2:3], -v[18:19]
	v_add_f64 v[2:3], v[21:22], v[29:30]
	v_fma_f64 v[0:1], v[0:1], -0.5, v[6:7]
	v_add_f64 v[6:7], v[21:22], -v[29:30]
	v_fma_f64 v[2:3], v[2:3], -0.5, v[4:5]
	v_add_f64 v[4:5], v[23:24], -v[31:32]
	v_fma_f64 v[21:22], v[6:7], s[6:7], v[0:1]
	v_fma_f64 v[0:1], v[6:7], s[12:13], v[0:1]
	;; [unrolled: 1-line block ×5, first 2 shown]
	v_mul_f64 v[23:24], v[21:22], s[12:13]
	v_mul_f64 v[21:22], v[21:22], 0.5
	v_fma_f64 v[2:3], v[4:5], s[6:7], v[2:3]
	v_mul_f64 v[4:5], v[0:1], s[12:13]
	v_mul_f64 v[0:1], v[0:1], -0.5
	v_fma_f64 v[28:29], v[25:26], 0.5, v[23:24]
	v_fma_f64 v[21:22], v[25:26], s[6:7], v[21:22]
	v_fma_f64 v[4:5], v[2:3], -0.5, v[4:5]
	v_fma_f64 v[0:1], v[2:3], s[6:7], v[0:1]
	v_add_f64 v[24:25], v[30:31], v[28:29]
	v_add_f64 v[26:27], v[37:38], v[21:22]
	v_add_f64 v[120:121], v[30:31], -v[28:29]
	v_add_f64 v[122:123], v[37:38], -v[21:22]
	v_add_f64 v[36:37], v[6:7], v[4:5]
	v_add_f64 v[38:39], v[8:9], v[0:1]
	v_add_f64 v[28:29], v[6:7], -v[4:5]
	v_add_f64 v[30:31], v[8:9], -v[0:1]
	ds_read_b128 v[32:35], v20 offset:1536
	ds_read_b128 v[8:11], v20 offset:3072
	ds_read_b128 v[4:7], v20 offset:4608
	ds_read_b128 v[0:3], v20 offset:6144
	s_waitcnt lgkmcnt(0)
	s_barrier
	buffer_load_dword v21, off, s[48:51], 0 offset:1472 ; 4-byte Folded Reload
	s_waitcnt vmcnt(0)
	ds_write_b128 v21, v[12:15]
	ds_write_b128 v21, v[24:27] offset:160
	ds_write_b128 v21, v[36:39] offset:320
	;; [unrolled: 1-line block ×5, first 2 shown]
	v_add_f64 v[12:13], v[102:103], v[112:113]
	v_add_f64 v[14:15], v[34:35], v[106:107]
	v_add_f64 v[38:39], v[106:107], -v[114:115]
	v_fma_f64 v[29:30], v[12:13], -0.5, v[32:33]
	v_add_f64 v[12:13], v[106:107], v[114:115]
	v_add_f64 v[18:19], v[14:15], v[114:115]
	v_fma_f64 v[36:37], v[12:13], -0.5, v[34:35]
	v_add_f64 v[12:13], v[32:33], v[102:103]
	v_add_f64 v[33:34], v[110:111], -v[118:119]
	v_add_f64 v[102:103], v[102:103], -v[112:113]
	v_add_f64 v[16:17], v[12:13], v[112:113]
	v_add_f64 v[12:13], v[100:101], v[110:111]
	;; [unrolled: 1-line block ×6, first 2 shown]
	v_add_f64 v[16:17], v[16:17], -v[21:22]
	v_add_f64 v[21:22], v[108:109], v[116:117]
	v_add_f64 v[14:15], v[18:19], v[23:24]
	v_add_f64 v[18:19], v[18:19], -v[23:24]
	v_fma_f64 v[31:32], v[21:22], -0.5, v[104:105]
	v_add_f64 v[21:22], v[110:111], v[118:119]
	v_add_f64 v[104:105], v[108:109], -v[116:117]
	v_fma_f64 v[108:109], v[102:103], s[6:7], v[36:37]
	v_fma_f64 v[35:36], v[102:103], s[12:13], v[36:37]
	v_fma_f64 v[100:101], v[21:22], -0.5, v[100:101]
	v_fma_f64 v[21:22], v[33:34], s[6:7], v[31:32]
	v_fma_f64 v[31:32], v[33:34], s[12:13], v[31:32]
	v_fma_f64 v[33:34], v[38:39], s[6:7], v[29:30]
	v_fma_f64 v[25:26], v[104:105], s[12:13], v[100:101]
	v_mul_f64 v[23:24], v[21:22], s[12:13]
	v_mul_f64 v[21:22], v[21:22], 0.5
	v_fma_f64 v[27:28], v[25:26], 0.5, v[23:24]
	v_fma_f64 v[106:107], v[25:26], s[6:7], v[21:22]
	v_fma_f64 v[25:26], v[38:39], s[12:13], v[29:30]
	v_fma_f64 v[29:30], v[104:105], s[6:7], v[100:101]
	v_mul_f64 v[37:38], v[31:32], s[12:13]
	v_mul_f64 v[31:32], v[31:32], -0.5
	v_add_f64 v[23:24], v[108:109], v[106:107]
	v_add_f64 v[21:22], v[25:26], v[27:28]
	v_add_f64 v[25:26], v[25:26], -v[27:28]
	v_fma_f64 v[37:38], v[29:30], -0.5, v[37:38]
	v_fma_f64 v[100:101], v[29:30], s[6:7], v[31:32]
	v_add_f64 v[27:28], v[108:109], -v[106:107]
	v_add_f64 v[29:30], v[33:34], v[37:38]
	v_add_f64 v[33:34], v[33:34], -v[37:38]
	buffer_load_dword v37, off, s[48:51], 0 offset:1336 ; 4-byte Folded Reload
	v_add_f64 v[31:32], v[35:36], v[100:101]
	v_add_f64 v[35:36], v[35:36], -v[100:101]
	s_waitcnt vmcnt(0)
	ds_write_b128 v37, v[12:15]
	ds_write_b128 v37, v[21:24] offset:160
	ds_write_b128 v37, v[29:32] offset:320
	;; [unrolled: 1-line block ×5, first 2 shown]
	v_add_f64 v[12:13], v[84:85], v[92:93]
	v_add_f64 v[31:32], v[90:91], -v[98:99]
	v_add_f64 v[33:34], v[86:87], -v[94:95]
	;; [unrolled: 1-line block ×3, first 2 shown]
	v_fma_f64 v[25:26], v[12:13], -0.5, v[8:9]
	v_add_f64 v[12:13], v[86:87], v[94:95]
	v_add_f64 v[8:9], v[8:9], v[84:85]
	v_fma_f64 v[27:28], v[12:13], -0.5, v[10:11]
	v_add_f64 v[12:13], v[8:9], v[92:93]
	v_add_f64 v[8:9], v[80:81], v[90:91]
	;; [unrolled: 1-line block ×3, first 2 shown]
	v_fma_f64 v[84:85], v[35:36], s[6:7], v[27:28]
	v_add_f64 v[16:17], v[8:9], v[98:99]
	v_add_f64 v[8:9], v[82:83], v[88:89]
	;; [unrolled: 1-line block ×5, first 2 shown]
	v_add_f64 v[12:13], v[12:13], -v[16:17]
	v_add_f64 v[16:17], v[88:89], v[96:97]
	v_add_f64 v[10:11], v[14:15], v[18:19]
	v_add_f64 v[14:15], v[14:15], -v[18:19]
	v_fma_f64 v[29:30], v[16:17], -0.5, v[82:83]
	v_add_f64 v[16:17], v[90:91], v[98:99]
	v_fma_f64 v[37:38], v[16:17], -0.5, v[80:81]
	v_add_f64 v[80:81], v[88:89], -v[96:97]
	v_fma_f64 v[16:17], v[31:32], s[6:7], v[29:30]
	v_fma_f64 v[29:30], v[31:32], s[12:13], v[29:30]
	;; [unrolled: 1-line block ×4, first 2 shown]
	v_mul_f64 v[18:19], v[16:17], s[12:13]
	v_mul_f64 v[16:17], v[16:17], 0.5
	v_fma_f64 v[23:24], v[21:22], 0.5, v[18:19]
	v_fma_f64 v[82:83], v[21:22], s[6:7], v[16:17]
	v_fma_f64 v[21:22], v[33:34], s[12:13], v[25:26]
	;; [unrolled: 1-line block ×4, first 2 shown]
	v_mul_f64 v[27:28], v[29:30], s[12:13]
	v_mul_f64 v[29:30], v[29:30], -0.5
	v_add_f64 v[18:19], v[84:85], v[82:83]
	v_add_f64 v[16:17], v[21:22], v[23:24]
	v_add_f64 v[21:22], v[21:22], -v[23:24]
	v_add_f64 v[23:24], v[84:85], -v[82:83]
	v_fma_f64 v[35:36], v[25:26], -0.5, v[27:28]
	v_fma_f64 v[37:38], v[25:26], s[6:7], v[29:30]
	v_add_f64 v[25:26], v[31:32], v[35:36]
	v_add_f64 v[27:28], v[33:34], v[37:38]
	v_add_f64 v[29:30], v[31:32], -v[35:36]
	v_add_f64 v[31:32], v[33:34], -v[37:38]
	buffer_load_dword v33, off, s[48:51], 0 offset:1136 ; 4-byte Folded Reload
	s_waitcnt vmcnt(0)
	ds_write_b128 v33, v[8:11]
	ds_write_b128 v33, v[16:19] offset:160
	ds_write_b128 v33, v[25:28] offset:320
	;; [unrolled: 1-line block ×5, first 2 shown]
	v_add_f64 v[8:9], v[62:63], v[72:73]
	v_add_f64 v[27:28], v[70:71], -v[78:79]
	v_add_f64 v[35:36], v[68:69], -v[76:77]
	;; [unrolled: 1-line block ×4, first 2 shown]
	v_fma_f64 v[21:22], v[8:9], -0.5, v[4:5]
	v_add_f64 v[8:9], v[66:67], v[74:75]
	v_add_f64 v[4:5], v[4:5], v[62:63]
	v_fma_f64 v[23:24], v[8:9], -0.5, v[6:7]
	v_add_f64 v[8:9], v[4:5], v[72:73]
	v_add_f64 v[4:5], v[60:61], v[70:71]
	;; [unrolled: 1-line block ×8, first 2 shown]
	v_add_f64 v[8:9], v[8:9], -v[12:13]
	v_add_f64 v[12:13], v[68:69], v[76:77]
	v_add_f64 v[6:7], v[10:11], v[14:15]
	v_add_f64 v[10:11], v[10:11], -v[14:15]
	v_fma_f64 v[25:26], v[12:13], -0.5, v[64:65]
	v_add_f64 v[12:13], v[70:71], v[78:79]
	v_fma_f64 v[33:34], v[12:13], -0.5, v[60:61]
	v_fma_f64 v[12:13], v[27:28], s[6:7], v[25:26]
	v_fma_f64 v[25:26], v[27:28], s[12:13], v[25:26]
	;; [unrolled: 1-line block ×5, first 2 shown]
	v_mul_f64 v[14:15], v[12:13], s[12:13]
	v_mul_f64 v[12:13], v[12:13], 0.5
	v_fma_f64 v[18:19], v[16:17], 0.5, v[14:15]
	v_fma_f64 v[37:38], v[16:17], s[6:7], v[12:13]
	v_fma_f64 v[16:17], v[29:30], s[12:13], v[21:22]
	;; [unrolled: 1-line block ×4, first 2 shown]
	v_mul_f64 v[23:24], v[25:26], s[12:13]
	v_mul_f64 v[25:26], v[25:26], -0.5
	v_add_f64 v[14:15], v[60:61], v[37:38]
	v_add_f64 v[12:13], v[16:17], v[18:19]
	v_add_f64 v[16:17], v[16:17], -v[18:19]
	v_add_f64 v[18:19], v[60:61], -v[37:38]
	v_fma_f64 v[31:32], v[21:22], -0.5, v[23:24]
	v_fma_f64 v[33:34], v[21:22], s[6:7], v[25:26]
	v_add_f64 v[21:22], v[27:28], v[31:32]
	v_add_f64 v[23:24], v[29:30], v[33:34]
	v_add_f64 v[25:26], v[27:28], -v[31:32]
	v_add_f64 v[27:28], v[29:30], -v[33:34]
	buffer_load_dword v29, off, s[48:51], 0 offset:940 ; 4-byte Folded Reload
	s_waitcnt vmcnt(0)
	ds_write_b128 v29, v[4:7]
	ds_write_b128 v29, v[12:15] offset:160
	ds_write_b128 v29, v[21:24] offset:320
	;; [unrolled: 1-line block ×5, first 2 shown]
	v_add_f64 v[4:5], v[42:43], v[52:53]
	v_add_f64 v[23:24], v[50:51], -v[58:59]
	v_add_f64 v[31:32], v[48:49], -v[56:57]
	;; [unrolled: 1-line block ×4, first 2 shown]
	v_fma_f64 v[16:17], v[4:5], -0.5, v[0:1]
	v_add_f64 v[4:5], v[46:47], v[54:55]
	v_add_f64 v[0:1], v[0:1], v[42:43]
	v_fma_f64 v[18:19], v[4:5], -0.5, v[2:3]
	v_add_f64 v[4:5], v[0:1], v[52:53]
	v_add_f64 v[0:1], v[40:41], v[50:51]
	v_add_f64 v[2:3], v[2:3], v[46:47]
	v_fma_f64 v[35:36], v[27:28], s[6:7], v[18:19]
	v_add_f64 v[8:9], v[0:1], v[58:59]
	v_add_f64 v[0:1], v[44:45], v[48:49]
	;; [unrolled: 1-line block ×5, first 2 shown]
	v_add_f64 v[4:5], v[4:5], -v[8:9]
	v_add_f64 v[8:9], v[48:49], v[56:57]
	v_add_f64 v[2:3], v[6:7], v[10:11]
	v_add_f64 v[6:7], v[6:7], -v[10:11]
	v_fma_f64 v[21:22], v[8:9], -0.5, v[44:45]
	v_add_f64 v[8:9], v[50:51], v[58:59]
	v_fma_f64 v[29:30], v[8:9], -0.5, v[40:41]
	v_fma_f64 v[8:9], v[23:24], s[6:7], v[21:22]
	v_fma_f64 v[21:22], v[23:24], s[12:13], v[21:22]
	;; [unrolled: 1-line block ×4, first 2 shown]
	v_mul_f64 v[10:11], v[8:9], s[12:13]
	v_mul_f64 v[8:9], v[8:9], 0.5
	v_fma_f64 v[14:15], v[12:13], 0.5, v[10:11]
	v_fma_f64 v[33:34], v[12:13], s[6:7], v[8:9]
	v_fma_f64 v[12:13], v[25:26], s[12:13], v[16:17]
	;; [unrolled: 1-line block ×4, first 2 shown]
	v_mul_f64 v[18:19], v[21:22], s[12:13]
	v_mul_f64 v[21:22], v[21:22], -0.5
	v_add_f64 v[10:11], v[35:36], v[33:34]
	v_add_f64 v[8:9], v[12:13], v[14:15]
	v_add_f64 v[12:13], v[12:13], -v[14:15]
	v_add_f64 v[14:15], v[35:36], -v[33:34]
	v_fma_f64 v[27:28], v[16:17], -0.5, v[18:19]
	v_fma_f64 v[29:30], v[16:17], s[6:7], v[21:22]
	v_add_f64 v[16:17], v[23:24], v[27:28]
	v_add_f64 v[18:19], v[25:26], v[29:30]
	v_add_f64 v[21:22], v[23:24], -v[27:28]
	v_add_f64 v[23:24], v[25:26], -v[29:30]
	buffer_load_dword v25, off, s[48:51], 0 offset:776 ; 4-byte Folded Reload
	s_waitcnt vmcnt(0)
	ds_write_b128 v25, v[0:3]
	ds_write_b128 v25, v[8:11] offset:160
	ds_write_b128 v25, v[16:19] offset:320
	;; [unrolled: 1-line block ×5, first 2 shown]
	s_waitcnt lgkmcnt(0)
	s_barrier
	ds_read_b128 v[0:3], v20 offset:7680
	buffer_load_dword v6, off, s[48:51], 0 offset:844 ; 4-byte Folded Reload
	buffer_load_dword v7, off, s[48:51], 0 offset:848 ; 4-byte Folded Reload
	buffer_load_dword v8, off, s[48:51], 0 offset:852 ; 4-byte Folded Reload
	buffer_load_dword v9, off, s[48:51], 0 offset:856 ; 4-byte Folded Reload
	s_waitcnt vmcnt(0) lgkmcnt(0)
	v_mul_f64 v[4:5], v[8:9], v[2:3]
	v_fma_f64 v[4:5], v[6:7], v[0:1], v[4:5]
	v_mul_f64 v[0:1], v[8:9], v[0:1]
	v_fma_f64 v[6:7], v[6:7], v[2:3], -v[0:1]
	ds_read_b128 v[0:3], v20 offset:15360
	buffer_load_dword v10, off, s[48:51], 0 offset:860 ; 4-byte Folded Reload
	buffer_load_dword v11, off, s[48:51], 0 offset:864 ; 4-byte Folded Reload
	buffer_load_dword v12, off, s[48:51], 0 offset:868 ; 4-byte Folded Reload
	buffer_load_dword v13, off, s[48:51], 0 offset:872 ; 4-byte Folded Reload
	s_waitcnt vmcnt(0) lgkmcnt(0)
	v_mul_f64 v[8:9], v[12:13], v[2:3]
	v_fma_f64 v[8:9], v[10:11], v[0:1], v[8:9]
	v_mul_f64 v[0:1], v[12:13], v[0:1]
	v_fma_f64 v[10:11], v[10:11], v[2:3], -v[0:1]
	;; [unrolled: 10-line block ×24, first 2 shown]
	ds_read_b128 v[0:3], v20 offset:44544
	buffer_load_dword v14, off, s[48:51], 0 offset:1456 ; 4-byte Folded Reload
	buffer_load_dword v15, off, s[48:51], 0 offset:1460 ; 4-byte Folded Reload
	;; [unrolled: 1-line block ×4, first 2 shown]
	s_waitcnt vmcnt(0) lgkmcnt(0)
	v_mul_f64 v[12:13], v[16:17], v[2:3]
	v_fma_f64 v[58:59], v[14:15], v[0:1], v[12:13]
	v_mul_f64 v[0:1], v[16:17], v[0:1]
	v_add_f64 v[12:13], v[8:9], v[25:26]
	v_fma_f64 v[56:57], v[14:15], v[2:3], -v[0:1]
	ds_read_b128 v[0:3], v20
	s_waitcnt lgkmcnt(0)
	v_fma_f64 v[33:34], v[12:13], -0.5, v[0:1]
	v_add_f64 v[12:13], v[10:11], v[27:28]
	v_add_f64 v[0:1], v[0:1], v[8:9]
	v_add_f64 v[8:9], v[8:9], -v[25:26]
	v_fma_f64 v[35:36], v[12:13], -0.5, v[2:3]
	v_add_f64 v[12:13], v[4:5], v[21:22]
	v_add_f64 v[2:3], v[2:3], v[10:11]
	;; [unrolled: 1-line block ×3, first 2 shown]
	v_add_f64 v[10:11], v[10:11], -v[27:28]
	v_fma_f64 v[37:38], v[8:9], s[6:7], v[35:36]
	v_add_f64 v[16:17], v[12:13], v[29:30]
	v_add_f64 v[12:13], v[6:7], v[23:24]
	;; [unrolled: 1-line block ×3, first 2 shown]
	v_fma_f64 v[8:9], v[8:9], s[12:13], v[35:36]
	v_add_f64 v[18:19], v[12:13], v[31:32]
	v_add_f64 v[12:13], v[0:1], v[16:17]
	v_add_f64 v[16:17], v[0:1], -v[16:17]
	v_add_f64 v[0:1], v[23:24], v[31:32]
	v_add_f64 v[14:15], v[2:3], v[18:19]
	v_add_f64 v[18:19], v[2:3], -v[18:19]
	v_add_f64 v[2:3], v[21:22], v[29:30]
	v_fma_f64 v[0:1], v[0:1], -0.5, v[6:7]
	v_add_f64 v[6:7], v[21:22], -v[29:30]
	v_fma_f64 v[2:3], v[2:3], -0.5, v[4:5]
	v_add_f64 v[4:5], v[23:24], -v[31:32]
	v_fma_f64 v[21:22], v[6:7], s[6:7], v[0:1]
	v_fma_f64 v[0:1], v[6:7], s[12:13], v[0:1]
	;; [unrolled: 1-line block ×5, first 2 shown]
	v_mul_f64 v[23:24], v[21:22], s[12:13]
	v_mul_f64 v[21:22], v[21:22], 0.5
	v_fma_f64 v[2:3], v[4:5], s[6:7], v[2:3]
	v_mul_f64 v[4:5], v[0:1], s[12:13]
	v_mul_f64 v[0:1], v[0:1], -0.5
	v_fma_f64 v[28:29], v[25:26], 0.5, v[23:24]
	v_fma_f64 v[21:22], v[25:26], s[6:7], v[21:22]
	v_fma_f64 v[4:5], v[2:3], -0.5, v[4:5]
	v_fma_f64 v[0:1], v[2:3], s[6:7], v[0:1]
	v_add_f64 v[24:25], v[30:31], v[28:29]
	v_add_f64 v[26:27], v[37:38], v[21:22]
	v_add_f64 v[122:123], v[37:38], -v[21:22]
	v_add_f64 v[36:37], v[6:7], v[4:5]
	v_add_f64 v[38:39], v[8:9], v[0:1]
	v_add_f64 v[120:121], v[30:31], -v[28:29]
	v_add_f64 v[28:29], v[6:7], -v[4:5]
	;; [unrolled: 1-line block ×3, first 2 shown]
	ds_read_b128 v[32:35], v20 offset:1536
	ds_read_b128 v[8:11], v20 offset:3072
	;; [unrolled: 1-line block ×4, first 2 shown]
	s_waitcnt lgkmcnt(0)
	s_barrier
	ds_write_b128 v195, v[12:15]
	ds_write_b128 v195, v[24:27] offset:960
	ds_write_b128 v195, v[36:39] offset:1920
	;; [unrolled: 1-line block ×5, first 2 shown]
	v_add_f64 v[12:13], v[102:103], v[112:113]
	v_add_f64 v[14:15], v[34:35], v[106:107]
	v_add_f64 v[38:39], v[106:107], -v[114:115]
	v_fma_f64 v[29:30], v[12:13], -0.5, v[32:33]
	v_add_f64 v[12:13], v[106:107], v[114:115]
	v_add_f64 v[18:19], v[14:15], v[114:115]
	v_fma_f64 v[36:37], v[12:13], -0.5, v[34:35]
	v_add_f64 v[12:13], v[32:33], v[102:103]
	v_add_f64 v[33:34], v[110:111], -v[118:119]
	v_add_f64 v[102:103], v[102:103], -v[112:113]
	v_add_f64 v[16:17], v[12:13], v[112:113]
	v_add_f64 v[12:13], v[100:101], v[110:111]
	;; [unrolled: 1-line block ×6, first 2 shown]
	v_add_f64 v[16:17], v[16:17], -v[21:22]
	v_add_f64 v[21:22], v[108:109], v[116:117]
	v_add_f64 v[14:15], v[18:19], v[23:24]
	v_add_f64 v[18:19], v[18:19], -v[23:24]
	v_fma_f64 v[31:32], v[21:22], -0.5, v[104:105]
	v_add_f64 v[21:22], v[110:111], v[118:119]
	v_add_f64 v[104:105], v[108:109], -v[116:117]
	v_fma_f64 v[108:109], v[102:103], s[6:7], v[36:37]
	v_fma_f64 v[35:36], v[102:103], s[12:13], v[36:37]
	v_fma_f64 v[100:101], v[21:22], -0.5, v[100:101]
	v_fma_f64 v[21:22], v[33:34], s[6:7], v[31:32]
	v_fma_f64 v[31:32], v[33:34], s[12:13], v[31:32]
	;; [unrolled: 1-line block ×4, first 2 shown]
	v_mul_f64 v[23:24], v[21:22], s[12:13]
	v_mul_f64 v[21:22], v[21:22], 0.5
	v_fma_f64 v[27:28], v[25:26], 0.5, v[23:24]
	v_fma_f64 v[106:107], v[25:26], s[6:7], v[21:22]
	v_fma_f64 v[25:26], v[38:39], s[12:13], v[29:30]
	;; [unrolled: 1-line block ×3, first 2 shown]
	v_mul_f64 v[37:38], v[31:32], s[12:13]
	v_mul_f64 v[31:32], v[31:32], -0.5
	v_add_f64 v[23:24], v[108:109], v[106:107]
	v_add_f64 v[21:22], v[25:26], v[27:28]
	v_add_f64 v[25:26], v[25:26], -v[27:28]
	v_fma_f64 v[37:38], v[29:30], -0.5, v[37:38]
	v_fma_f64 v[100:101], v[29:30], s[6:7], v[31:32]
	v_add_f64 v[27:28], v[108:109], -v[106:107]
	v_add_f64 v[29:30], v[33:34], v[37:38]
	v_add_f64 v[33:34], v[33:34], -v[37:38]
	buffer_load_dword v37, off, s[48:51], 0 offset:1636 ; 4-byte Folded Reload
	v_add_f64 v[31:32], v[35:36], v[100:101]
	v_add_f64 v[35:36], v[35:36], -v[100:101]
	s_waitcnt vmcnt(0)
	ds_write_b128 v37, v[12:15]
	ds_write_b128 v37, v[21:24] offset:960
	ds_write_b128 v37, v[29:32] offset:1920
	;; [unrolled: 1-line block ×5, first 2 shown]
	v_add_f64 v[12:13], v[84:85], v[92:93]
	v_add_f64 v[31:32], v[90:91], -v[98:99]
	v_add_f64 v[33:34], v[86:87], -v[94:95]
	;; [unrolled: 1-line block ×3, first 2 shown]
	v_fma_f64 v[25:26], v[12:13], -0.5, v[8:9]
	v_add_f64 v[12:13], v[86:87], v[94:95]
	v_add_f64 v[8:9], v[8:9], v[84:85]
	v_fma_f64 v[27:28], v[12:13], -0.5, v[10:11]
	v_add_f64 v[12:13], v[8:9], v[92:93]
	v_add_f64 v[8:9], v[80:81], v[90:91]
	;; [unrolled: 1-line block ×3, first 2 shown]
	v_fma_f64 v[84:85], v[35:36], s[6:7], v[27:28]
	v_add_f64 v[16:17], v[8:9], v[98:99]
	v_add_f64 v[8:9], v[82:83], v[88:89]
	;; [unrolled: 1-line block ×5, first 2 shown]
	v_add_f64 v[12:13], v[12:13], -v[16:17]
	v_add_f64 v[16:17], v[88:89], v[96:97]
	v_add_f64 v[10:11], v[14:15], v[18:19]
	v_add_f64 v[14:15], v[14:15], -v[18:19]
	v_fma_f64 v[29:30], v[16:17], -0.5, v[82:83]
	v_add_f64 v[16:17], v[90:91], v[98:99]
	v_fma_f64 v[37:38], v[16:17], -0.5, v[80:81]
	v_add_f64 v[80:81], v[88:89], -v[96:97]
	v_fma_f64 v[16:17], v[31:32], s[6:7], v[29:30]
	v_fma_f64 v[29:30], v[31:32], s[12:13], v[29:30]
	;; [unrolled: 1-line block ×4, first 2 shown]
	v_mul_f64 v[18:19], v[16:17], s[12:13]
	v_mul_f64 v[16:17], v[16:17], 0.5
	v_fma_f64 v[23:24], v[21:22], 0.5, v[18:19]
	v_fma_f64 v[82:83], v[21:22], s[6:7], v[16:17]
	v_fma_f64 v[21:22], v[33:34], s[12:13], v[25:26]
	;; [unrolled: 1-line block ×4, first 2 shown]
	v_mul_f64 v[27:28], v[29:30], s[12:13]
	v_mul_f64 v[29:30], v[29:30], -0.5
	v_add_f64 v[18:19], v[84:85], v[82:83]
	v_add_f64 v[16:17], v[21:22], v[23:24]
	v_add_f64 v[21:22], v[21:22], -v[23:24]
	v_add_f64 v[23:24], v[84:85], -v[82:83]
	v_fma_f64 v[35:36], v[25:26], -0.5, v[27:28]
	v_fma_f64 v[37:38], v[25:26], s[6:7], v[29:30]
	v_add_f64 v[25:26], v[31:32], v[35:36]
	v_add_f64 v[27:28], v[33:34], v[37:38]
	v_add_f64 v[29:30], v[31:32], -v[35:36]
	v_add_f64 v[31:32], v[33:34], -v[37:38]
	buffer_load_dword v33, off, s[48:51], 0 offset:1476 ; 4-byte Folded Reload
	s_waitcnt vmcnt(0)
	ds_write_b128 v33, v[8:11]
	ds_write_b128 v33, v[16:19] offset:960
	ds_write_b128 v33, v[25:28] offset:1920
	;; [unrolled: 1-line block ×5, first 2 shown]
	v_add_f64 v[8:9], v[62:63], v[72:73]
	v_add_f64 v[27:28], v[70:71], -v[78:79]
	v_add_f64 v[35:36], v[68:69], -v[76:77]
	;; [unrolled: 1-line block ×4, first 2 shown]
	v_fma_f64 v[21:22], v[8:9], -0.5, v[4:5]
	v_add_f64 v[8:9], v[66:67], v[74:75]
	v_add_f64 v[4:5], v[4:5], v[62:63]
	v_fma_f64 v[23:24], v[8:9], -0.5, v[6:7]
	v_add_f64 v[8:9], v[4:5], v[72:73]
	v_add_f64 v[4:5], v[60:61], v[70:71]
	;; [unrolled: 1-line block ×8, first 2 shown]
	v_add_f64 v[8:9], v[8:9], -v[12:13]
	v_add_f64 v[12:13], v[68:69], v[76:77]
	v_add_f64 v[6:7], v[10:11], v[14:15]
	v_add_f64 v[10:11], v[10:11], -v[14:15]
	v_fma_f64 v[25:26], v[12:13], -0.5, v[64:65]
	v_add_f64 v[12:13], v[70:71], v[78:79]
	v_fma_f64 v[33:34], v[12:13], -0.5, v[60:61]
	v_fma_f64 v[12:13], v[27:28], s[6:7], v[25:26]
	v_fma_f64 v[25:26], v[27:28], s[12:13], v[25:26]
	;; [unrolled: 1-line block ×5, first 2 shown]
	v_mul_f64 v[14:15], v[12:13], s[12:13]
	v_mul_f64 v[12:13], v[12:13], 0.5
	v_fma_f64 v[18:19], v[16:17], 0.5, v[14:15]
	v_fma_f64 v[37:38], v[16:17], s[6:7], v[12:13]
	v_fma_f64 v[16:17], v[29:30], s[12:13], v[21:22]
	;; [unrolled: 1-line block ×4, first 2 shown]
	v_mul_f64 v[23:24], v[25:26], s[12:13]
	v_mul_f64 v[25:26], v[25:26], -0.5
	v_add_f64 v[14:15], v[60:61], v[37:38]
	v_add_f64 v[12:13], v[16:17], v[18:19]
	v_add_f64 v[16:17], v[16:17], -v[18:19]
	v_add_f64 v[18:19], v[60:61], -v[37:38]
	v_fma_f64 v[31:32], v[21:22], -0.5, v[23:24]
	v_fma_f64 v[33:34], v[21:22], s[6:7], v[25:26]
	v_add_f64 v[21:22], v[27:28], v[31:32]
	v_add_f64 v[23:24], v[29:30], v[33:34]
	v_add_f64 v[25:26], v[27:28], -v[31:32]
	v_add_f64 v[27:28], v[29:30], -v[33:34]
	buffer_load_dword v29, off, s[48:51], 0 offset:1356 ; 4-byte Folded Reload
	s_waitcnt vmcnt(0)
	ds_write_b128 v29, v[4:7]
	ds_write_b128 v29, v[12:15] offset:960
	ds_write_b128 v29, v[21:24] offset:1920
	;; [unrolled: 1-line block ×5, first 2 shown]
	v_add_f64 v[4:5], v[42:43], v[52:53]
	v_add_f64 v[23:24], v[50:51], -v[58:59]
	v_add_f64 v[31:32], v[48:49], -v[56:57]
	;; [unrolled: 1-line block ×4, first 2 shown]
	v_fma_f64 v[16:17], v[4:5], -0.5, v[0:1]
	v_add_f64 v[4:5], v[46:47], v[54:55]
	v_add_f64 v[0:1], v[0:1], v[42:43]
	v_fma_f64 v[18:19], v[4:5], -0.5, v[2:3]
	v_add_f64 v[4:5], v[0:1], v[52:53]
	v_add_f64 v[0:1], v[40:41], v[50:51]
	;; [unrolled: 1-line block ×3, first 2 shown]
	v_fma_f64 v[35:36], v[27:28], s[6:7], v[18:19]
	v_add_f64 v[8:9], v[0:1], v[58:59]
	v_add_f64 v[0:1], v[44:45], v[48:49]
	;; [unrolled: 1-line block ×5, first 2 shown]
	v_add_f64 v[4:5], v[4:5], -v[8:9]
	v_add_f64 v[8:9], v[48:49], v[56:57]
	v_add_f64 v[2:3], v[6:7], v[10:11]
	v_add_f64 v[6:7], v[6:7], -v[10:11]
	v_fma_f64 v[21:22], v[8:9], -0.5, v[44:45]
	v_add_f64 v[8:9], v[50:51], v[58:59]
	v_fma_f64 v[29:30], v[8:9], -0.5, v[40:41]
	v_fma_f64 v[8:9], v[23:24], s[6:7], v[21:22]
	v_fma_f64 v[21:22], v[23:24], s[12:13], v[21:22]
	;; [unrolled: 1-line block ×4, first 2 shown]
	v_mul_f64 v[10:11], v[8:9], s[12:13]
	v_mul_f64 v[8:9], v[8:9], 0.5
	v_fma_f64 v[14:15], v[12:13], 0.5, v[10:11]
	v_fma_f64 v[33:34], v[12:13], s[6:7], v[8:9]
	v_fma_f64 v[12:13], v[25:26], s[12:13], v[16:17]
	;; [unrolled: 1-line block ×4, first 2 shown]
	v_mul_f64 v[18:19], v[21:22], s[12:13]
	v_mul_f64 v[21:22], v[21:22], -0.5
	v_add_f64 v[10:11], v[35:36], v[33:34]
	v_add_f64 v[8:9], v[12:13], v[14:15]
	v_add_f64 v[12:13], v[12:13], -v[14:15]
	v_add_f64 v[14:15], v[35:36], -v[33:34]
	v_fma_f64 v[27:28], v[16:17], -0.5, v[18:19]
	v_fma_f64 v[29:30], v[16:17], s[6:7], v[21:22]
	v_add_f64 v[16:17], v[23:24], v[27:28]
	v_add_f64 v[18:19], v[25:26], v[29:30]
	v_add_f64 v[21:22], v[23:24], -v[27:28]
	v_add_f64 v[23:24], v[25:26], -v[29:30]
	buffer_load_dword v25, off, s[48:51], 0 offset:1236 ; 4-byte Folded Reload
	s_waitcnt vmcnt(0)
	ds_write_b128 v25, v[0:3]
	ds_write_b128 v25, v[8:11] offset:960
	ds_write_b128 v25, v[16:19] offset:1920
	;; [unrolled: 1-line block ×5, first 2 shown]
	s_waitcnt lgkmcnt(0)
	s_barrier
	ds_read_b128 v[0:3], v20 offset:23040
	buffer_load_dword v6, off, s[48:51], 0 offset:1204 ; 4-byte Folded Reload
	buffer_load_dword v7, off, s[48:51], 0 offset:1208 ; 4-byte Folded Reload
	buffer_load_dword v8, off, s[48:51], 0 offset:1212 ; 4-byte Folded Reload
	buffer_load_dword v9, off, s[48:51], 0 offset:1216 ; 4-byte Folded Reload
	s_waitcnt vmcnt(0) lgkmcnt(0)
	v_mul_f64 v[4:5], v[8:9], v[2:3]
	v_fma_f64 v[4:5], v[6:7], v[0:1], v[4:5]
	v_mul_f64 v[0:1], v[8:9], v[0:1]
	v_fma_f64 v[6:7], v[6:7], v[2:3], -v[0:1]
	ds_read_b128 v[0:3], v20 offset:24576
	buffer_load_dword v14, off, s[48:51], 0 offset:1188 ; 4-byte Folded Reload
	buffer_load_dword v15, off, s[48:51], 0 offset:1192 ; 4-byte Folded Reload
	buffer_load_dword v16, off, s[48:51], 0 offset:1196 ; 4-byte Folded Reload
	buffer_load_dword v17, off, s[48:51], 0 offset:1200 ; 4-byte Folded Reload
	s_waitcnt vmcnt(0) lgkmcnt(0)
	v_mul_f64 v[8:9], v[16:17], v[2:3]
	v_fma_f64 v[12:13], v[14:15], v[0:1], v[8:9]
	v_mul_f64 v[0:1], v[16:17], v[0:1]
	v_fma_f64 v[14:15], v[14:15], v[2:3], -v[0:1]
	;; [unrolled: 10-line block ×10, first 2 shown]
	ds_read_b128 v[0:3], v20 offset:38400
	buffer_load_dword v16, off, s[48:51], 0 offset:1528 ; 4-byte Folded Reload
	buffer_load_dword v17, off, s[48:51], 0 offset:1532 ; 4-byte Folded Reload
	;; [unrolled: 1-line block ×4, first 2 shown]
	ds_read_b128 v[25:28], v20 offset:4608
	s_waitcnt lgkmcnt(0)
	v_add_f64 v[29:30], v[25:26], -v[29:30]
	v_add_f64 v[31:32], v[27:28], -v[31:32]
	v_fma_f64 v[25:26], v[25:26], 2.0, -v[29:30]
	v_fma_f64 v[27:28], v[27:28], 2.0, -v[31:32]
	s_waitcnt vmcnt(0)
	v_mul_f64 v[8:9], v[18:19], v[2:3]
	v_fma_f64 v[101:102], v[16:17], v[0:1], v[8:9]
	v_mul_f64 v[0:1], v[18:19], v[0:1]
	v_fma_f64 v[103:104], v[16:17], v[2:3], -v[0:1]
	ds_read_b128 v[0:3], v20 offset:39936
	ds_read_b128 v[16:19], v20 offset:3072
	s_waitcnt lgkmcnt(1)
	v_mul_f64 v[8:9], v[242:243], v[2:3]
	s_waitcnt lgkmcnt(0)
	v_add_f64 v[21:22], v[16:17], -v[21:22]
	v_add_f64 v[23:24], v[18:19], -v[23:24]
	v_fma_f64 v[105:106], v[240:241], v[0:1], v[8:9]
	v_mul_f64 v[0:1], v[242:243], v[0:1]
	v_fma_f64 v[16:17], v[16:17], 2.0, -v[21:22]
	v_fma_f64 v[18:19], v[18:19], 2.0, -v[23:24]
	v_fma_f64 v[107:108], v[240:241], v[2:3], -v[0:1]
	ds_read_b128 v[0:3], v20 offset:41472
	s_waitcnt lgkmcnt(0)
	v_mul_f64 v[8:9], v[238:239], v[2:3]
	v_fma_f64 v[109:110], v[236:237], v[0:1], v[8:9]
	v_mul_f64 v[0:1], v[238:239], v[0:1]
	v_fma_f64 v[111:112], v[236:237], v[2:3], -v[0:1]
	ds_read_b128 v[0:3], v20 offset:43008
	s_waitcnt lgkmcnt(0)
	v_mul_f64 v[8:9], v[234:235], v[2:3]
	v_fma_f64 v[113:114], v[232:233], v[0:1], v[8:9]
	v_mul_f64 v[0:1], v[234:235], v[0:1]
	v_fma_f64 v[115:116], v[232:233], v[2:3], -v[0:1]
	ds_read_b128 v[0:3], v20 offset:44544
	s_waitcnt lgkmcnt(0)
	v_mul_f64 v[8:9], v[230:231], v[2:3]
	v_fma_f64 v[117:118], v[228:229], v[0:1], v[8:9]
	v_mul_f64 v[0:1], v[230:231], v[0:1]
	ds_read_b128 v[8:11], v20 offset:1536
	s_waitcnt lgkmcnt(0)
	v_add_f64 v[12:13], v[8:9], -v[12:13]
	v_add_f64 v[14:15], v[10:11], -v[14:15]
	v_fma_f64 v[119:120], v[228:229], v[2:3], -v[0:1]
	ds_read_b128 v[0:3], v20
	ds_read_b128 v[33:36], v20 offset:6144
	ds_read_b128 v[37:40], v20 offset:7680
	;; [unrolled: 1-line block ×11, first 2 shown]
	s_waitcnt lgkmcnt(0)
	s_barrier
	v_add_f64 v[4:5], v[0:1], -v[4:5]
	v_add_f64 v[6:7], v[2:3], -v[6:7]
	v_fma_f64 v[8:9], v[8:9], 2.0, -v[12:13]
	v_fma_f64 v[10:11], v[10:11], 2.0, -v[14:15]
	;; [unrolled: 1-line block ×4, first 2 shown]
	ds_write_b128 v20, v[0:3]
	ds_write_b128 v20, v[4:7] offset:5760
	ds_write_b128 v20, v[8:11] offset:1536
	;; [unrolled: 1-line block ×5, first 2 shown]
	buffer_load_dword v0, off, s[48:51], 0 offset:1660 ; 4-byte Folded Reload
	s_waitcnt vmcnt(0)
	ds_write_b128 v0, v[25:28]
	ds_write_b128 v0, v[29:32] offset:5760
	v_add_f64 v[0:1], v[33:34], -v[77:78]
	v_add_f64 v[2:3], v[35:36], -v[79:80]
	v_add_f64 v[8:9], v[37:38], -v[81:82]
	v_add_f64 v[10:11], v[39:40], -v[83:84]
	v_add_f64 v[16:17], v[41:42], -v[85:86]
	v_add_f64 v[18:19], v[43:44], -v[87:88]
	v_add_f64 v[25:26], v[45:46], -v[89:90]
	v_add_f64 v[27:28], v[47:48], -v[91:92]
	v_fma_f64 v[4:5], v[33:34], 2.0, -v[0:1]
	v_fma_f64 v[6:7], v[35:36], 2.0, -v[2:3]
	;; [unrolled: 1-line block ×6, first 2 shown]
	ds_write_b128 v20, v[4:7] offset:11904
	ds_write_b128 v20, v[0:3] offset:17664
	;; [unrolled: 1-line block ×6, first 2 shown]
	buffer_load_dword v0, off, s[48:51], 0 offset:1656 ; 4-byte Folded Reload
	v_fma_f64 v[29:30], v[45:46], 2.0, -v[25:26]
	v_fma_f64 v[31:32], v[47:48], 2.0, -v[27:28]
	s_waitcnt vmcnt(0)
	ds_write_b128 v0, v[29:32]
	ds_write_b128 v0, v[25:28] offset:5760
	buffer_load_dword v8, off, s[48:51], 0 offset:1652 ; 4-byte Folded Reload
	v_add_f64 v[0:1], v[49:50], -v[93:94]
	v_add_f64 v[2:3], v[51:52], -v[95:96]
	v_fma_f64 v[4:5], v[49:50], 2.0, -v[0:1]
	v_fma_f64 v[6:7], v[51:52], 2.0, -v[2:3]
	s_waitcnt vmcnt(0)
	ds_write_b128 v8, v[4:7] offset:23040
	ds_write_b128 v8, v[0:3] offset:28800
	buffer_load_dword v8, off, s[48:51], 0 offset:1648 ; 4-byte Folded Reload
	v_add_f64 v[0:1], v[53:54], -v[97:98]
	v_add_f64 v[2:3], v[55:56], -v[99:100]
	v_fma_f64 v[4:5], v[53:54], 2.0, -v[0:1]
	v_fma_f64 v[6:7], v[55:56], 2.0, -v[2:3]
	s_waitcnt vmcnt(0)
	ds_write_b128 v8, v[4:7] offset:23040
	;; [unrolled: 8-line block ×3, first 2 shown]
	ds_write_b128 v8, v[0:3] offset:28800
	buffer_load_dword v8, off, s[48:51], 0 offset:1640 ; 4-byte Folded Reload
	v_add_f64 v[0:1], v[61:62], -v[105:106]
	v_add_f64 v[2:3], v[63:64], -v[107:108]
	v_fma_f64 v[4:5], v[61:62], 2.0, -v[0:1]
	v_fma_f64 v[6:7], v[63:64], 2.0, -v[2:3]
	s_waitcnt vmcnt(0)
	ds_write_b128 v8, v[4:7]
	ds_write_b128 v8, v[0:3] offset:5760
	buffer_load_dword v8, off, s[48:51], 0 offset:1632 ; 4-byte Folded Reload
	v_add_f64 v[0:1], v[65:66], -v[109:110]
	v_add_f64 v[2:3], v[67:68], -v[111:112]
	v_fma_f64 v[4:5], v[65:66], 2.0, -v[0:1]
	v_fma_f64 v[6:7], v[67:68], 2.0, -v[2:3]
	s_waitcnt vmcnt(0)
	ds_write_b128 v8, v[4:7] offset:34560
	ds_write_b128 v8, v[0:3] offset:40320
	buffer_load_dword v8, off, s[48:51], 0 offset:1628 ; 4-byte Folded Reload
	v_add_f64 v[0:1], v[69:70], -v[113:114]
	v_add_f64 v[2:3], v[71:72], -v[115:116]
	v_fma_f64 v[4:5], v[69:70], 2.0, -v[0:1]
	v_fma_f64 v[6:7], v[71:72], 2.0, -v[2:3]
	s_waitcnt vmcnt(0)
	ds_write_b128 v8, v[4:7] offset:34560
	;; [unrolled: 8-line block ×3, first 2 shown]
	ds_write_b128 v8, v[0:3] offset:40320
	s_waitcnt lgkmcnt(0)
	s_barrier
	ds_read_b128 v[0:3], v20 offset:23040
	buffer_load_dword v6, off, s[48:51], 0 offset:1548 ; 4-byte Folded Reload
	buffer_load_dword v7, off, s[48:51], 0 offset:1552 ; 4-byte Folded Reload
	buffer_load_dword v8, off, s[48:51], 0 offset:1556 ; 4-byte Folded Reload
	buffer_load_dword v9, off, s[48:51], 0 offset:1560 ; 4-byte Folded Reload
	s_waitcnt vmcnt(0) lgkmcnt(0)
	v_mul_f64 v[4:5], v[8:9], v[2:3]
	v_fma_f64 v[4:5], v[6:7], v[0:1], v[4:5]
	v_mul_f64 v[0:1], v[8:9], v[0:1]
	v_fma_f64 v[6:7], v[6:7], v[2:3], -v[0:1]
	ds_read_b128 v[0:3], v20 offset:24576
	buffer_load_dword v14, off, s[48:51], 0 offset:1564 ; 4-byte Folded Reload
	buffer_load_dword v15, off, s[48:51], 0 offset:1568 ; 4-byte Folded Reload
	buffer_load_dword v16, off, s[48:51], 0 offset:1572 ; 4-byte Folded Reload
	buffer_load_dword v17, off, s[48:51], 0 offset:1576 ; 4-byte Folded Reload
	s_waitcnt vmcnt(0) lgkmcnt(0)
	v_mul_f64 v[8:9], v[16:17], v[2:3]
	v_fma_f64 v[12:13], v[14:15], v[0:1], v[8:9]
	v_mul_f64 v[0:1], v[16:17], v[0:1]
	v_fma_f64 v[14:15], v[14:15], v[2:3], -v[0:1]
	;; [unrolled: 10-line block ×4, first 2 shown]
	ds_read_b128 v[0:3], v20 offset:29184
	s_waitcnt lgkmcnt(0)
	v_mul_f64 v[8:9], v[254:255], v[2:3]
	v_fma_f64 v[37:38], v[252:253], v[0:1], v[8:9]
	v_mul_f64 v[0:1], v[254:255], v[0:1]
	v_fma_f64 v[39:40], v[252:253], v[2:3], -v[0:1]
	ds_read_b128 v[0:3], v20 offset:30720
	buffer_load_dword v16, off, s[48:51], 0 offset:1612 ; 4-byte Folded Reload
	buffer_load_dword v17, off, s[48:51], 0 offset:1616 ; 4-byte Folded Reload
	;; [unrolled: 1-line block ×4, first 2 shown]
	ds_read_b128 v[25:28], v20 offset:4608
	ds_read_b128 v[33:36], v20 offset:6144
	;; [unrolled: 1-line block ×5, first 2 shown]
	s_waitcnt lgkmcnt(4)
	v_add_f64 v[29:30], v[25:26], -v[29:30]
	v_add_f64 v[31:32], v[27:28], -v[31:32]
	s_waitcnt lgkmcnt(3)
	v_add_f64 v[37:38], v[33:34], -v[37:38]
	v_add_f64 v[39:40], v[35:36], -v[39:40]
	v_fma_f64 v[25:26], v[25:26], 2.0, -v[29:30]
	v_fma_f64 v[27:28], v[27:28], 2.0, -v[31:32]
	;; [unrolled: 1-line block ×4, first 2 shown]
	s_waitcnt vmcnt(0)
	v_mul_f64 v[8:9], v[18:19], v[2:3]
	v_fma_f64 v[45:46], v[16:17], v[0:1], v[8:9]
	v_mul_f64 v[0:1], v[18:19], v[0:1]
	s_waitcnt lgkmcnt(2)
	v_add_f64 v[45:46], v[41:42], -v[45:46]
	v_fma_f64 v[47:48], v[16:17], v[2:3], -v[0:1]
	ds_read_b128 v[0:3], v20 offset:32256
	ds_read_b128 v[16:19], v20 offset:3072
	s_waitcnt lgkmcnt(1)
	v_mul_f64 v[8:9], v[250:251], v[2:3]
	s_waitcnt lgkmcnt(0)
	v_add_f64 v[21:22], v[16:17], -v[21:22]
	v_add_f64 v[23:24], v[18:19], -v[23:24]
	;; [unrolled: 1-line block ×3, first 2 shown]
	v_fma_f64 v[41:42], v[41:42], 2.0, -v[45:46]
	v_fma_f64 v[53:54], v[248:249], v[0:1], v[8:9]
	v_mul_f64 v[0:1], v[250:251], v[0:1]
	v_fma_f64 v[16:17], v[16:17], 2.0, -v[21:22]
	v_fma_f64 v[18:19], v[18:19], 2.0, -v[23:24]
	;; [unrolled: 1-line block ×3, first 2 shown]
	v_add_f64 v[53:54], v[49:50], -v[53:54]
	v_fma_f64 v[55:56], v[248:249], v[2:3], -v[0:1]
	ds_read_b128 v[0:3], v20 offset:33792
	s_waitcnt lgkmcnt(0)
	v_mul_f64 v[8:9], v[246:247], v[2:3]
	v_fma_f64 v[49:50], v[49:50], 2.0, -v[53:54]
	v_add_f64 v[55:56], v[51:52], -v[55:56]
	v_fma_f64 v[61:62], v[244:245], v[0:1], v[8:9]
	v_mul_f64 v[0:1], v[246:247], v[0:1]
	v_fma_f64 v[51:52], v[51:52], 2.0, -v[55:56]
	v_add_f64 v[61:62], v[57:58], -v[61:62]
	v_fma_f64 v[63:64], v[244:245], v[2:3], -v[0:1]
	ds_read_b128 v[0:3], v20 offset:35328
	s_waitcnt lgkmcnt(0)
	v_mul_f64 v[8:9], v[226:227], v[2:3]
	v_fma_f64 v[57:58], v[57:58], 2.0, -v[61:62]
	v_add_f64 v[63:64], v[59:60], -v[63:64]
	v_fma_f64 v[93:94], v[224:225], v[0:1], v[8:9]
	v_mul_f64 v[0:1], v[226:227], v[0:1]
	v_fma_f64 v[59:60], v[59:60], 2.0, -v[63:64]
	v_fma_f64 v[95:96], v[224:225], v[2:3], -v[0:1]
	ds_read_b128 v[0:3], v20 offset:36864
	s_waitcnt lgkmcnt(0)
	v_mul_f64 v[8:9], v[222:223], v[2:3]
	v_fma_f64 v[97:98], v[220:221], v[0:1], v[8:9]
	v_mul_f64 v[0:1], v[222:223], v[0:1]
	v_fma_f64 v[99:100], v[220:221], v[2:3], -v[0:1]
	ds_read_b128 v[0:3], v20 offset:38400
	s_waitcnt lgkmcnt(0)
	v_mul_f64 v[8:9], v[218:219], v[2:3]
	v_fma_f64 v[101:102], v[216:217], v[0:1], v[8:9]
	v_mul_f64 v[0:1], v[218:219], v[0:1]
	v_fma_f64 v[103:104], v[216:217], v[2:3], -v[0:1]
	ds_read_b128 v[0:3], v20 offset:39936
	s_waitcnt lgkmcnt(0)
	v_mul_f64 v[8:9], v[214:215], v[2:3]
	v_fma_f64 v[105:106], v[212:213], v[0:1], v[8:9]
	v_mul_f64 v[0:1], v[214:215], v[0:1]
	v_fma_f64 v[107:108], v[212:213], v[2:3], -v[0:1]
	ds_read_b128 v[0:3], v20 offset:41472
	s_waitcnt lgkmcnt(0)
	v_mul_f64 v[8:9], v[210:211], v[2:3]
	v_fma_f64 v[109:110], v[208:209], v[0:1], v[8:9]
	v_mul_f64 v[0:1], v[210:211], v[0:1]
	v_fma_f64 v[111:112], v[208:209], v[2:3], -v[0:1]
	ds_read_b128 v[0:3], v20 offset:43008
	s_waitcnt lgkmcnt(0)
	v_mul_f64 v[8:9], v[202:203], v[2:3]
	v_fma_f64 v[113:114], v[200:201], v[0:1], v[8:9]
	v_mul_f64 v[0:1], v[202:203], v[0:1]
	v_fma_f64 v[115:116], v[200:201], v[2:3], -v[0:1]
	ds_read_b128 v[0:3], v20 offset:44544
	s_waitcnt lgkmcnt(0)
	v_mul_f64 v[8:9], v[182:183], v[2:3]
	v_fma_f64 v[117:118], v[180:181], v[0:1], v[8:9]
	v_mul_f64 v[0:1], v[182:183], v[0:1]
	ds_read_b128 v[8:11], v20 offset:1536
	s_waitcnt lgkmcnt(0)
	v_add_f64 v[12:13], v[8:9], -v[12:13]
	v_add_f64 v[14:15], v[10:11], -v[14:15]
	v_fma_f64 v[119:120], v[180:181], v[2:3], -v[0:1]
	ds_read_b128 v[0:3], v20
	ds_read_b128 v[65:68], v20 offset:12288
	ds_read_b128 v[69:72], v20 offset:13824
	;; [unrolled: 1-line block ×7, first 2 shown]
	s_waitcnt lgkmcnt(0)
	s_barrier
	v_add_f64 v[4:5], v[0:1], -v[4:5]
	v_add_f64 v[6:7], v[2:3], -v[6:7]
	v_fma_f64 v[8:9], v[8:9], 2.0, -v[12:13]
	v_fma_f64 v[10:11], v[10:11], 2.0, -v[14:15]
	v_fma_f64 v[0:1], v[0:1], 2.0, -v[4:5]
	v_fma_f64 v[2:3], v[2:3], 2.0, -v[6:7]
	ds_write_b128 v20, v[0:3]
	ds_write_b128 v20, v[4:7] offset:11520
	ds_write_b128 v20, v[8:11] offset:1536
	;; [unrolled: 1-line block ×13, first 2 shown]
	buffer_load_dword v0, off, s[48:51], 0 offset:1664 ; 4-byte Folded Reload
	s_waitcnt vmcnt(0)
	ds_write_b128 v0, v[57:60]
	ds_write_b128 v0, v[61:64] offset:11520
	v_add_f64 v[0:1], v[65:66], -v[93:94]
	v_add_f64 v[2:3], v[67:68], -v[95:96]
	;; [unrolled: 1-line block ×8, first 2 shown]
	v_fma_f64 v[4:5], v[65:66], 2.0, -v[0:1]
	v_fma_f64 v[6:7], v[67:68], 2.0, -v[2:3]
	v_add_f64 v[33:34], v[81:82], -v[109:110]
	v_add_f64 v[35:36], v[83:84], -v[111:112]
	;; [unrolled: 1-line block ×6, first 2 shown]
	v_fma_f64 v[12:13], v[69:70], 2.0, -v[8:9]
	v_fma_f64 v[14:15], v[71:72], 2.0, -v[10:11]
	;; [unrolled: 1-line block ×12, first 2 shown]
	ds_write_b128 v20, v[4:7] offset:23808
	ds_write_b128 v20, v[0:3] offset:35328
	;; [unrolled: 1-line block ×14, first 2 shown]
	s_waitcnt lgkmcnt(0)
	s_barrier
	ds_read_b128 v[0:3], v20
	ds_read_b128 v[8:11], v20 offset:23040
	ds_read_b128 v[4:7], v20 offset:1536
	ds_read_b128 v[12:15], v20 offset:24576
	ds_read_b128 v[16:19], v20 offset:3072
	ds_read_b128 v[21:24], v20 offset:26112
	ds_read_b128 v[25:28], v20 offset:4608
	ds_read_b128 v[29:32], v20 offset:27648
	ds_read_b128 v[33:36], v20 offset:6144
	ds_read_b128 v[37:40], v20 offset:29184
	s_waitcnt lgkmcnt(8)
	v_mul_f64 v[41:42], v[206:207], v[10:11]
	s_waitcnt lgkmcnt(6)
	v_mul_f64 v[45:46], v[198:199], v[14:15]
	v_mul_f64 v[47:48], v[198:199], v[12:13]
	s_waitcnt lgkmcnt(4)
	v_mul_f64 v[53:54], v[193:194], v[23:24]
	v_mul_f64 v[55:56], v[193:194], v[21:22]
	;; [unrolled: 1-line block ×3, first 2 shown]
	v_fma_f64 v[49:50], v[204:205], v[8:9], v[41:42]
	v_fma_f64 v[57:58], v[196:197], v[12:13], v[45:46]
	v_fma_f64 v[59:60], v[196:197], v[14:15], -v[47:48]
	v_fma_f64 v[61:62], v[191:192], v[21:22], v[53:54]
	v_fma_f64 v[63:64], v[191:192], v[23:24], -v[55:56]
	s_waitcnt lgkmcnt(0)
	v_mul_f64 v[53:54], v[178:179], v[39:40]
	v_mul_f64 v[55:56], v[178:179], v[37:38]
	;; [unrolled: 1-line block ×4, first 2 shown]
	v_fma_f64 v[51:52], v[204:205], v[10:11], -v[43:44]
	ds_read_b128 v[8:11], v20 offset:7680
	ds_read_b128 v[41:44], v20 offset:30720
	;; [unrolled: 1-line block ×4, first 2 shown]
	v_add_f64 v[49:50], v[0:1], -v[49:50]
	v_fma_f64 v[69:70], v[176:177], v[37:38], v[53:54]
	v_fma_f64 v[71:72], v[176:177], v[39:40], -v[55:56]
	s_waitcnt lgkmcnt(1)
	v_mul_f64 v[53:54], v[170:171], v[14:15]
	v_mul_f64 v[55:56], v[170:171], v[12:13]
	v_fma_f64 v[65:66], v[187:188], v[29:30], v[45:46]
	v_fma_f64 v[67:68], v[187:188], v[31:32], -v[47:48]
	v_mul_f64 v[45:46], v[174:175], v[43:44]
	v_mul_f64 v[47:48], v[174:175], v[41:42]
	ds_read_b128 v[29:32], v20 offset:35328
	ds_read_b128 v[37:40], v20 offset:36864
	v_add_f64 v[51:52], v[2:3], -v[51:52]
	v_fma_f64 v[77:78], v[168:169], v[12:13], v[53:54]
	v_fma_f64 v[79:80], v[168:169], v[14:15], -v[55:56]
	s_waitcnt lgkmcnt(1)
	v_mul_f64 v[53:54], v[162:163], v[31:32]
	v_mul_f64 v[55:56], v[162:163], v[29:30]
	v_fma_f64 v[73:74], v[172:173], v[41:42], v[45:46]
	v_fma_f64 v[75:76], v[172:173], v[43:44], -v[47:48]
	v_mul_f64 v[45:46], v[166:167], v[23:24]
	v_mul_f64 v[47:48], v[166:167], v[21:22]
	ds_read_b128 v[12:15], v20 offset:38400
	ds_read_b128 v[41:44], v20 offset:39936
	v_fma_f64 v[0:1], v[0:1], 2.0, -v[49:50]
	v_fma_f64 v[85:86], v[160:161], v[29:30], v[53:54]
	v_fma_f64 v[87:88], v[160:161], v[31:32], -v[55:56]
	s_waitcnt lgkmcnt(1)
	v_mul_f64 v[53:54], v[154:155], v[14:15]
	v_mul_f64 v[55:56], v[154:155], v[12:13]
	v_fma_f64 v[81:82], v[164:165], v[21:22], v[45:46]
	v_fma_f64 v[83:84], v[164:165], v[23:24], -v[47:48]
	v_mul_f64 v[45:46], v[158:159], v[39:40]
	v_mul_f64 v[47:48], v[158:159], v[37:38]
	ds_read_b128 v[21:24], v20 offset:41472
	ds_read_b128 v[29:32], v20 offset:43008
	v_fma_f64 v[2:3], v[2:3], 2.0, -v[51:52]
	v_fma_f64 v[93:94], v[152:153], v[12:13], v[53:54]
	v_fma_f64 v[95:96], v[152:153], v[14:15], -v[55:56]
	s_waitcnt lgkmcnt(1)
	v_mul_f64 v[53:54], v[146:147], v[23:24]
	v_mul_f64 v[55:56], v[146:147], v[21:22]
	v_fma_f64 v[89:90], v[156:157], v[37:38], v[45:46]
	v_fma_f64 v[91:92], v[156:157], v[39:40], -v[47:48]
	ds_read_b128 v[12:15], v20 offset:9216
	ds_read_b128 v[37:40], v20 offset:44544
	v_mul_f64 v[45:46], v[150:151], v[43:44]
	v_mul_f64 v[47:48], v[150:151], v[41:42]
	v_fma_f64 v[101:102], v[144:145], v[21:22], v[53:54]
	v_fma_f64 v[103:104], v[144:145], v[23:24], -v[55:56]
	s_waitcnt lgkmcnt(0)
	v_mul_f64 v[53:54], v[138:139], v[39:40]
	v_mul_f64 v[55:56], v[138:139], v[37:38]
	v_fma_f64 v[97:98], v[148:149], v[41:42], v[45:46]
	v_fma_f64 v[99:100], v[148:149], v[43:44], -v[47:48]
	v_mul_f64 v[45:46], v[142:143], v[31:32]
	v_mul_f64 v[47:48], v[142:143], v[29:30]
	ds_read_b128 v[21:24], v20 offset:10752
	ds_read_b128 v[41:44], v20 offset:12288
	v_fma_f64 v[117:118], v[136:137], v[37:38], v[53:54]
	v_fma_f64 v[119:120], v[136:137], v[39:40], -v[55:56]
	v_add_f64 v[53:54], v[4:5], -v[57:58]
	v_add_f64 v[55:56], v[6:7], -v[59:60]
	;; [unrolled: 1-line block ×3, first 2 shown]
	v_fma_f64 v[109:110], v[140:141], v[29:30], v[45:46]
	v_fma_f64 v[111:112], v[140:141], v[31:32], -v[47:48]
	ds_read_b128 v[29:32], v20 offset:13824
	ds_read_b128 v[45:48], v20 offset:15360
	;; [unrolled: 1-line block ×3, first 2 shown]
	v_add_f64 v[59:60], v[18:19], -v[63:64]
	v_fma_f64 v[4:5], v[4:5], 2.0, -v[53:54]
	v_fma_f64 v[6:7], v[6:7], 2.0, -v[55:56]
	v_add_f64 v[61:62], v[25:26], -v[65:66]
	v_add_f64 v[63:64], v[27:28], -v[67:68]
	v_add_f64 v[65:66], v[33:34], -v[69:70]
	v_add_f64 v[67:68], v[35:36], -v[71:72]
	v_add_f64 v[69:70], v[8:9], -v[73:74]
	v_add_f64 v[71:72], v[10:11], -v[75:76]
	v_add_f64 v[73:74], v[12:13], -v[77:78]
	v_add_f64 v[75:76], v[14:15], -v[79:80]
	s_waitcnt lgkmcnt(4)
	v_add_f64 v[77:78], v[21:22], -v[81:82]
	v_add_f64 v[79:80], v[23:24], -v[83:84]
	s_waitcnt lgkmcnt(3)
	v_add_f64 v[81:82], v[41:42], -v[85:86]
	v_add_f64 v[83:84], v[43:44], -v[87:88]
	;; [unrolled: 3-line block ×5, first 2 shown]
	ds_read_b128 v[97:100], v20 offset:18432
	ds_read_b128 v[105:108], v20 offset:19968
	;; [unrolled: 1-line block ×3, first 2 shown]
	ds_write_b128 v20, v[0:3]
	ds_write_b128 v20, v[49:52] offset:23040
	ds_write_b128 v20, v[4:7] offset:1536
	buffer_load_dword v0, off, s[48:51], 0 offset:28 ; 4-byte Folded Reload
	buffer_load_dword v1, off, s[48:51], 0 offset:32 ; 4-byte Folded Reload
	s_waitcnt lgkmcnt(5)
	v_add_f64 v[101:102], v[97:98], -v[101:102]
	v_add_f64 v[103:104], v[99:100], -v[103:104]
	s_waitcnt lgkmcnt(4)
	v_add_f64 v[109:110], v[105:106], -v[109:110]
	v_add_f64 v[111:112], v[107:108], -v[111:112]
	;; [unrolled: 3-line block ×3, first 2 shown]
	v_fma_f64 v[16:17], v[16:17], 2.0, -v[57:58]
	v_fma_f64 v[18:19], v[18:19], 2.0, -v[59:60]
	;; [unrolled: 1-line block ×26, first 2 shown]
	ds_write_b128 v20, v[53:56] offset:24576
	ds_write_b128 v20, v[16:19] offset:3072
	;; [unrolled: 1-line block ×27, first 2 shown]
	s_waitcnt vmcnt(0) lgkmcnt(0)
	s_barrier
	v_mov_b32_e32 v7, v0
	ds_read_b128 v[0:3], v20
	buffer_load_dword v10, off, s[48:51], 0 offset:376 ; 4-byte Folded Reload
	buffer_load_dword v11, off, s[48:51], 0 offset:380 ; 4-byte Folded Reload
	;; [unrolled: 1-line block ×4, first 2 shown]
	v_mad_u64_u32 v[49:50], s[0:1], s10, v7, 0
	v_mov_b32_e32 v4, v50
	s_waitcnt vmcnt(0) lgkmcnt(0)
	v_mul_f64 v[5:6], v[12:13], v[2:3]
	v_mad_u64_u32 v[7:8], s[0:1], s11, v7, v[4:5]
	v_mul_f64 v[8:9], v[12:13], v[0:1]
	v_fma_f64 v[0:1], v[10:11], v[0:1], v[5:6]
	buffer_load_dword v6, off, s[48:51], 0 offset:532 ; 4-byte Folded Reload
	v_mov_b32_e32 v4, v10
	v_mov_b32_e32 v5, v11
	;; [unrolled: 1-line block ×3, first 2 shown]
	v_fma_f64 v[8:9], v[4:5], v[2:3], -v[8:9]
	s_waitcnt vmcnt(0)
	v_mad_u64_u32 v[10:11], s[0:1], s8, v6, 0
	s_mov_b32 s0, 0x16c16c17
	s_mov_b32 s1, 0x3f36c16c
	v_mov_b32_e32 v2, v11
	v_mad_u64_u32 v[11:12], s[4:5], s9, v6, v[2:3]
	ds_read_b128 v[2:5], v20 offset:4608
	buffer_load_dword v21, off, s[48:51], 0 offset:360 ; 4-byte Folded Reload
	buffer_load_dword v22, off, s[48:51], 0 offset:364 ; 4-byte Folded Reload
	buffer_load_dword v23, off, s[48:51], 0 offset:368 ; 4-byte Folded Reload
	buffer_load_dword v24, off, s[48:51], 0 offset:372 ; 4-byte Folded Reload
	v_lshlrev_b64 v[12:13], 4, v[49:50]
	v_mul_f64 v[6:7], v[0:1], s[0:1]
	v_mul_f64 v[8:9], v[8:9], s[0:1]
	v_add_co_u32_e32 v1, vcc, s2, v12
	v_mov_b32_e32 v0, s3
	v_addc_co_u32_e32 v0, vcc, v0, v13, vcc
	v_lshlrev_b64 v[10:11], 4, v[10:11]
	s_mul_i32 s2, s9, 0x1200
	s_mul_hi_u32 s3, s8, 0x1200
	s_add_i32 s2, s3, s2
	s_mul_i32 s3, s8, 0x1200
	s_waitcnt vmcnt(0) lgkmcnt(0)
	v_mul_f64 v[14:15], v[23:24], v[4:5]
	v_mul_f64 v[16:17], v[23:24], v[2:3]
	v_fma_f64 v[12:13], v[21:22], v[2:3], v[14:15]
	v_fma_f64 v[14:15], v[21:22], v[4:5], -v[16:17]
	v_add_co_u32_e32 v16, vcc, v1, v10
	v_addc_co_u32_e32 v17, vcc, v0, v11, vcc
	global_store_dwordx4 v[16:17], v[6:9], off
	ds_read_b128 v[2:5], v20 offset:9216
	v_mul_f64 v[6:7], v[12:13], s[0:1]
	buffer_load_dword v10, off, s[48:51], 0 offset:344 ; 4-byte Folded Reload
	buffer_load_dword v11, off, s[48:51], 0 offset:348 ; 4-byte Folded Reload
	;; [unrolled: 1-line block ×4, first 2 shown]
	v_mul_f64 v[8:9], v[14:15], s[0:1]
	v_add_co_u32_e32 v16, vcc, s3, v16
	s_waitcnt vmcnt(0) lgkmcnt(0)
	v_mul_f64 v[14:15], v[12:13], v[4:5]
	v_mul_f64 v[18:19], v[12:13], v[2:3]
	v_mov_b32_e32 v22, v11
	v_mov_b32_e32 v21, v10
	ds_read_b128 v[10:13], v20 offset:13824
	v_fma_f64 v[2:3], v[21:22], v[2:3], v[14:15]
	v_fma_f64 v[4:5], v[21:22], v[4:5], -v[18:19]
	buffer_load_dword v22, off, s[48:51], 0 offset:328 ; 4-byte Folded Reload
	buffer_load_dword v23, off, s[48:51], 0 offset:332 ; 4-byte Folded Reload
	;; [unrolled: 1-line block ×4, first 2 shown]
	v_mov_b32_e32 v21, s2
	v_addc_co_u32_e32 v17, vcc, v17, v21, vcc
	global_store_dwordx4 v[16:17], v[6:9], off
	v_mul_f64 v[2:3], v[2:3], s[0:1]
	v_mul_f64 v[4:5], v[4:5], s[0:1]
	s_waitcnt vmcnt(1) lgkmcnt(0)
	v_mul_f64 v[14:15], v[24:25], v[12:13]
	v_mul_f64 v[18:19], v[24:25], v[10:11]
	v_fma_f64 v[6:7], v[22:23], v[10:11], v[14:15]
	v_fma_f64 v[8:9], v[22:23], v[12:13], -v[18:19]
	v_add_co_u32_e32 v13, vcc, s3, v16
	v_mov_b32_e32 v10, s2
	v_addc_co_u32_e32 v14, vcc, v17, v10, vcc
	global_store_dwordx4 v[13:14], v[2:5], off
	ds_read_b128 v[2:5], v20 offset:18432
	v_add_co_u32_e32 v15, vcc, s3, v13
	buffer_load_dword v10, off, s[48:51], 0 offset:312 ; 4-byte Folded Reload
	buffer_load_dword v11, off, s[48:51], 0 offset:316 ; 4-byte Folded Reload
	;; [unrolled: 1-line block ×5, first 2 shown]
	v_mul_f64 v[6:7], v[6:7], s[0:1]
	v_mul_f64 v[8:9], v[8:9], s[0:1]
	v_mov_b32_e32 v16, s2
	v_addc_co_u32_e32 v16, vcc, v14, v16, vcc
	s_waitcnt vmcnt(1) lgkmcnt(0)
	v_mul_f64 v[17:18], v[12:13], v[4:5]
	v_mul_f64 v[21:22], v[12:13], v[2:3]
	v_mov_b32_e32 v26, v11
	v_mov_b32_e32 v25, v10
	ds_read_b128 v[10:13], v20 offset:23040
	s_waitcnt vmcnt(0)
	v_mad_u64_u32 v[23:24], s[4:5], s8, v19, 0
	v_fma_f64 v[2:3], v[25:26], v[2:3], v[17:18]
	v_fma_f64 v[4:5], v[25:26], v[4:5], -v[21:22]
	buffer_load_dword v26, off, s[48:51], 0 offset:296 ; 4-byte Folded Reload
	buffer_load_dword v27, off, s[48:51], 0 offset:300 ; 4-byte Folded Reload
	;; [unrolled: 1-line block ×4, first 2 shown]
	v_mov_b32_e32 v14, v24
	v_mad_u64_u32 v[24:25], s[4:5], s9, v19, v[14:15]
	global_store_dwordx4 v[15:16], v[6:9], off
	s_mul_i32 s4, s9, 0x2400
	v_mul_f64 v[2:3], v[2:3], s[0:1]
	v_mul_f64 v[4:5], v[4:5], s[0:1]
	v_lshlrev_b64 v[6:7], 4, v[23:24]
	s_mul_hi_u32 s5, s8, 0x2400
	s_add_i32 s4, s5, s4
	s_mul_i32 s5, s8, 0x2400
	s_waitcnt vmcnt(1) lgkmcnt(0)
	v_mul_f64 v[17:18], v[28:29], v[12:13]
	v_mul_f64 v[21:22], v[28:29], v[10:11]
	v_fma_f64 v[10:11], v[26:27], v[10:11], v[17:18]
	v_fma_f64 v[12:13], v[26:27], v[12:13], -v[21:22]
	v_add_co_u32_e32 v17, vcc, v1, v6
	v_addc_co_u32_e32 v18, vcc, v0, v7, vcc
	global_store_dwordx4 v[17:18], v[2:5], off
	ds_read_b128 v[6:9], v20 offset:27648
	v_mul_f64 v[2:3], v[10:11], s[0:1]
	v_mul_f64 v[4:5], v[12:13], s[0:1]
	buffer_load_dword v10, off, s[48:51], 0 offset:280 ; 4-byte Folded Reload
	buffer_load_dword v11, off, s[48:51], 0 offset:284 ; 4-byte Folded Reload
	;; [unrolled: 1-line block ×4, first 2 shown]
	v_add_co_u32_e32 v14, vcc, s5, v15
	v_mov_b32_e32 v15, s4
	v_addc_co_u32_e32 v15, vcc, v16, v15, vcc
	s_waitcnt vmcnt(0) lgkmcnt(0)
	v_mul_f64 v[17:18], v[12:13], v[8:9]
	v_mul_f64 v[21:22], v[12:13], v[6:7]
	v_mov_b32_e32 v24, v11
	v_mov_b32_e32 v23, v10
	ds_read_b128 v[10:13], v20 offset:32256
	v_fma_f64 v[6:7], v[23:24], v[6:7], v[17:18]
	v_fma_f64 v[8:9], v[23:24], v[8:9], -v[21:22]
	buffer_load_dword v23, off, s[48:51], 0 offset:264 ; 4-byte Folded Reload
	buffer_load_dword v24, off, s[48:51], 0 offset:268 ; 4-byte Folded Reload
	;; [unrolled: 1-line block ×4, first 2 shown]
	s_waitcnt vmcnt(0) lgkmcnt(0)
	v_mul_f64 v[17:18], v[25:26], v[12:13]
	global_store_dwordx4 v[14:15], v[2:5], off
	v_mul_f64 v[21:22], v[25:26], v[10:11]
	v_mul_f64 v[2:3], v[6:7], s[0:1]
	;; [unrolled: 1-line block ×3, first 2 shown]
	v_fma_f64 v[6:7], v[23:24], v[10:11], v[17:18]
	v_add_co_u32_e32 v10, vcc, s3, v14
	v_mov_b32_e32 v11, s2
	v_addc_co_u32_e32 v11, vcc, v15, v11, vcc
	global_store_dwordx4 v[10:11], v[2:5], off
	v_fma_f64 v[8:9], v[23:24], v[12:13], -v[21:22]
	ds_read_b128 v[2:5], v20 offset:36864
	buffer_load_dword v21, off, s[48:51], 0 offset:216 ; 4-byte Folded Reload
	buffer_load_dword v22, off, s[48:51], 0 offset:220 ; 4-byte Folded Reload
	;; [unrolled: 1-line block ×5, first 2 shown]
	v_mul_f64 v[6:7], v[6:7], s[0:1]
	v_add_co_u32_e32 v14, vcc, s3, v10
	v_mov_b32_e32 v10, s2
	v_mul_f64 v[8:9], v[8:9], s[0:1]
	v_addc_co_u32_e32 v15, vcc, v11, v10, vcc
	ds_read_b128 v[10:13], v20 offset:41472
	global_store_dwordx4 v[14:15], v[6:9], off
	s_waitcnt vmcnt(2) lgkmcnt(1)
	v_mul_f64 v[16:17], v[23:24], v[4:5]
	v_mul_f64 v[18:19], v[23:24], v[2:3]
	v_mov_b32_e32 v24, v22
	v_mov_b32_e32 v23, v21
	s_waitcnt vmcnt(1)
	v_mad_u64_u32 v[21:22], s[6:7], s8, v26, 0
	v_fma_f64 v[2:3], v[23:24], v[2:3], v[16:17]
	v_fma_f64 v[4:5], v[23:24], v[4:5], -v[18:19]
	v_mov_b32_e32 v6, v22
	buffer_load_dword v22, off, s[48:51], 0 offset:200 ; 4-byte Folded Reload
	buffer_load_dword v23, off, s[48:51], 0 offset:204 ; 4-byte Folded Reload
	;; [unrolled: 1-line block ×4, first 2 shown]
	v_mul_f64 v[2:3], v[2:3], s[0:1]
	v_mul_f64 v[4:5], v[4:5], s[0:1]
	s_waitcnt vmcnt(0) lgkmcnt(0)
	v_mul_f64 v[16:17], v[24:25], v[12:13]
	v_mul_f64 v[18:19], v[24:25], v[10:11]
	v_mov_b32_e32 v25, v23
	v_mov_b32_e32 v24, v22
	v_mad_u64_u32 v[22:23], s[6:7], s9, v26, v[6:7]
	ds_read_b128 v[6:9], v20 offset:1536
	v_fma_f64 v[10:11], v[24:25], v[10:11], v[16:17]
	v_fma_f64 v[12:13], v[24:25], v[12:13], -v[18:19]
	v_lshlrev_b64 v[21:22], 4, v[21:22]
	buffer_load_dword v23, off, s[48:51], 0 offset:84 ; 4-byte Folded Reload
	buffer_load_dword v24, off, s[48:51], 0 offset:88 ; 4-byte Folded Reload
	;; [unrolled: 1-line block ×4, first 2 shown]
	v_add_co_u32_e32 v21, vcc, v1, v21
	v_addc_co_u32_e32 v22, vcc, v0, v22, vcc
	global_store_dwordx4 v[21:22], v[2:5], off
	s_waitcnt vmcnt(1) lgkmcnt(0)
	v_mul_f64 v[16:17], v[25:26], v[8:9]
	v_mul_f64 v[2:3], v[10:11], s[0:1]
	;; [unrolled: 1-line block ×3, first 2 shown]
	v_add_co_u32_e32 v10, vcc, s5, v14
	v_mov_b32_e32 v11, s4
	v_addc_co_u32_e32 v11, vcc, v15, v11, vcc
	v_mov_b32_e32 v12, 0xffff6400
	v_mad_u64_u32 v[14:15], s[6:7], s8, v12, v[10:11]
	global_store_dwordx4 v[10:11], v[2:5], off
	ds_read_b128 v[2:5], v20 offset:6144
	buffer_load_dword v10, off, s[48:51], 0 offset:68 ; 4-byte Folded Reload
	buffer_load_dword v11, off, s[48:51], 0 offset:72 ; 4-byte Folded Reload
	;; [unrolled: 1-line block ×4, first 2 shown]
	v_mul_f64 v[18:19], v[25:26], v[6:7]
	v_fma_f64 v[6:7], v[23:24], v[6:7], v[16:17]
	buffer_load_dword v25, off, s[48:51], 0 offset:504 ; 4-byte Folded Reload
	s_mul_i32 s6, s9, 0xffff6400
	s_sub_i32 s10, s6, s8
	v_add_u32_e32 v15, s10, v15
	v_fma_f64 v[8:9], v[23:24], v[8:9], -v[18:19]
	v_mul_f64 v[6:7], v[6:7], s[0:1]
	v_mul_f64 v[8:9], v[8:9], s[0:1]
	s_waitcnt vmcnt(3)
	v_mov_b32_e32 v24, v11
	s_waitcnt vmcnt(1) lgkmcnt(0)
	v_mul_f64 v[16:17], v[12:13], v[4:5]
	v_mul_f64 v[18:19], v[12:13], v[2:3]
	v_mov_b32_e32 v23, v10
	ds_read_b128 v[10:13], v20 offset:10752
	buffer_load_dword v27, off, s[48:51], 0 offset:36 ; 4-byte Folded Reload
	buffer_load_dword v28, off, s[48:51], 0 offset:40 ; 4-byte Folded Reload
	;; [unrolled: 1-line block ×4, first 2 shown]
	s_waitcnt vmcnt(4)
	v_mad_u64_u32 v[21:22], s[6:7], s8, v25, 0
	global_store_dwordx4 v[14:15], v[6:9], off
	v_fma_f64 v[2:3], v[23:24], v[2:3], v[16:17]
	v_fma_f64 v[4:5], v[23:24], v[4:5], -v[18:19]
	v_mov_b32_e32 v16, v22
	ds_read_b128 v[6:9], v20 offset:15360
	v_mul_f64 v[2:3], v[2:3], s[0:1]
	v_mul_f64 v[4:5], v[4:5], s[0:1]
	s_waitcnt vmcnt(1) lgkmcnt(1)
	v_mul_f64 v[17:18], v[29:30], v[12:13]
	v_mul_f64 v[23:24], v[29:30], v[10:11]
	v_mad_u64_u32 v[25:26], s[6:7], s9, v25, v[16:17]
	v_fma_f64 v[12:13], v[27:28], v[12:13], -v[23:24]
	v_fma_f64 v[10:11], v[27:28], v[10:11], v[17:18]
	v_mov_b32_e32 v22, v25
	buffer_load_dword v23, off, s[48:51], 0 offset:472 ; 4-byte Folded Reload
	buffer_load_dword v24, off, s[48:51], 0 offset:476 ; 4-byte Folded Reload
	;; [unrolled: 1-line block ×4, first 2 shown]
	v_lshlrev_b64 v[21:22], 4, v[21:22]
	v_add_co_u32_e32 v16, vcc, v1, v21
	v_addc_co_u32_e32 v17, vcc, v0, v22, vcc
	global_store_dwordx4 v[16:17], v[2:5], off
	v_add_co_u32_e32 v14, vcc, s5, v14
	v_mul_f64 v[2:3], v[10:11], s[0:1]
	v_mul_f64 v[4:5], v[12:13], s[0:1]
	ds_read_b128 v[10:13], v20 offset:19968
	s_waitcnt vmcnt(1) lgkmcnt(1)
	v_mul_f64 v[18:19], v[25:26], v[8:9]
	v_mul_f64 v[21:22], v[25:26], v[6:7]
	v_fma_f64 v[6:7], v[23:24], v[6:7], v[18:19]
	v_fma_f64 v[8:9], v[23:24], v[8:9], -v[21:22]
	buffer_load_dword v22, off, s[48:51], 0 offset:488 ; 4-byte Folded Reload
	buffer_load_dword v23, off, s[48:51], 0 offset:492 ; 4-byte Folded Reload
	;; [unrolled: 1-line block ×4, first 2 shown]
	v_mov_b32_e32 v21, s4
	v_addc_co_u32_e32 v15, vcc, v15, v21, vcc
	global_store_dwordx4 v[14:15], v[2:5], off
	s_waitcnt vmcnt(1) lgkmcnt(0)
	v_mul_f64 v[16:17], v[24:25], v[12:13]
	v_mul_f64 v[18:19], v[24:25], v[10:11]
	;; [unrolled: 1-line block ×4, first 2 shown]
	v_fma_f64 v[6:7], v[22:23], v[10:11], v[16:17]
	v_fma_f64 v[8:9], v[22:23], v[12:13], -v[18:19]
	v_add_co_u32_e32 v13, vcc, s3, v14
	v_mov_b32_e32 v10, s2
	v_addc_co_u32_e32 v14, vcc, v15, v10, vcc
	global_store_dwordx4 v[13:14], v[2:5], off
	ds_read_b128 v[2:5], v20 offset:24576
	v_add_co_u32_e32 v15, vcc, s3, v13
	buffer_load_dword v10, off, s[48:51], 0 offset:456 ; 4-byte Folded Reload
	buffer_load_dword v11, off, s[48:51], 0 offset:460 ; 4-byte Folded Reload
	;; [unrolled: 1-line block ×5, first 2 shown]
	v_mul_f64 v[6:7], v[6:7], s[0:1]
	v_mul_f64 v[8:9], v[8:9], s[0:1]
	v_mov_b32_e32 v16, s2
	v_addc_co_u32_e32 v16, vcc, v14, v16, vcc
	s_waitcnt vmcnt(1) lgkmcnt(0)
	v_mul_f64 v[17:18], v[12:13], v[4:5]
	v_mul_f64 v[21:22], v[12:13], v[2:3]
	v_mov_b32_e32 v26, v11
	v_mov_b32_e32 v25, v10
	ds_read_b128 v[10:13], v20 offset:29184
	s_waitcnt vmcnt(0)
	v_mad_u64_u32 v[23:24], s[6:7], s8, v19, 0
	v_fma_f64 v[2:3], v[25:26], v[2:3], v[17:18]
	v_fma_f64 v[4:5], v[25:26], v[4:5], -v[21:22]
	buffer_load_dword v26, off, s[48:51], 0 offset:440 ; 4-byte Folded Reload
	buffer_load_dword v27, off, s[48:51], 0 offset:444 ; 4-byte Folded Reload
	buffer_load_dword v28, off, s[48:51], 0 offset:448 ; 4-byte Folded Reload
	buffer_load_dword v29, off, s[48:51], 0 offset:452 ; 4-byte Folded Reload
	v_mov_b32_e32 v14, v24
	v_mad_u64_u32 v[24:25], s[6:7], s9, v19, v[14:15]
	global_store_dwordx4 v[15:16], v[6:9], off
	ds_read_b128 v[6:9], v20 offset:33792
	v_lshlrev_b64 v[23:24], 4, v[23:24]
	v_mul_f64 v[2:3], v[2:3], s[0:1]
	v_mul_f64 v[4:5], v[4:5], s[0:1]
	s_waitcnt vmcnt(1) lgkmcnt(1)
	v_mul_f64 v[17:18], v[28:29], v[12:13]
	v_mul_f64 v[21:22], v[28:29], v[10:11]
	v_fma_f64 v[10:11], v[26:27], v[10:11], v[17:18]
	v_fma_f64 v[12:13], v[26:27], v[12:13], -v[21:22]
	buffer_load_dword v25, off, s[48:51], 0 offset:424 ; 4-byte Folded Reload
	buffer_load_dword v26, off, s[48:51], 0 offset:428 ; 4-byte Folded Reload
	;; [unrolled: 1-line block ×4, first 2 shown]
	v_add_co_u32_e32 v17, vcc, v1, v23
	v_addc_co_u32_e32 v18, vcc, v0, v24, vcc
	global_store_dwordx4 v[17:18], v[2:5], off
	v_add_co_u32_e32 v14, vcc, s5, v15
	v_mul_f64 v[2:3], v[10:11], s[0:1]
	v_mul_f64 v[4:5], v[12:13], s[0:1]
	ds_read_b128 v[10:13], v20 offset:38400
	v_mov_b32_e32 v15, s4
	v_addc_co_u32_e32 v15, vcc, v16, v15, vcc
	v_mov_b32_e32 v16, s2
	s_waitcnt vmcnt(1) lgkmcnt(1)
	v_mul_f64 v[21:22], v[27:28], v[8:9]
	v_mul_f64 v[23:24], v[27:28], v[6:7]
	v_fma_f64 v[6:7], v[25:26], v[6:7], v[21:22]
	v_fma_f64 v[8:9], v[25:26], v[8:9], -v[23:24]
	buffer_load_dword v23, off, s[48:51], 0 offset:408 ; 4-byte Folded Reload
	buffer_load_dword v24, off, s[48:51], 0 offset:412 ; 4-byte Folded Reload
	;; [unrolled: 1-line block ×4, first 2 shown]
	s_waitcnt vmcnt(0) lgkmcnt(0)
	v_mul_f64 v[17:18], v[25:26], v[12:13]
	global_store_dwordx4 v[14:15], v[2:5], off
	v_mul_f64 v[21:22], v[25:26], v[10:11]
	v_mul_f64 v[2:3], v[6:7], s[0:1]
	;; [unrolled: 1-line block ×3, first 2 shown]
	v_add_co_u32_e32 v14, vcc, s3, v14
	v_addc_co_u32_e32 v15, vcc, v15, v16, vcc
	v_fma_f64 v[10:11], v[23:24], v[10:11], v[17:18]
	v_fma_f64 v[12:13], v[23:24], v[12:13], -v[21:22]
	ds_read_b128 v[6:9], v20 offset:43008
	global_store_dwordx4 v[14:15], v[2:5], off
	buffer_load_dword v22, off, s[48:51], 0 offset:392 ; 4-byte Folded Reload
	buffer_load_dword v23, off, s[48:51], 0 offset:396 ; 4-byte Folded Reload
	;; [unrolled: 1-line block ×5, first 2 shown]
	v_add_co_u32_e32 v14, vcc, s3, v14
	v_mul_f64 v[2:3], v[10:11], s[0:1]
	v_mul_f64 v[4:5], v[12:13], s[0:1]
	v_mov_b32_e32 v12, s2
	v_addc_co_u32_e32 v15, vcc, v15, v12, vcc
	s_waitcnt vmcnt(1) lgkmcnt(0)
	v_mul_f64 v[10:11], v[24:25], v[8:9]
	v_mul_f64 v[16:17], v[24:25], v[6:7]
	s_waitcnt vmcnt(0)
	v_mad_u64_u32 v[18:19], s[6:7], s8, v21, 0
	v_fma_f64 v[6:7], v[22:23], v[6:7], v[10:11]
	ds_read_b128 v[10:13], v20 offset:3072
	buffer_load_dword v25, off, s[48:51], 0 offset:248 ; 4-byte Folded Reload
	buffer_load_dword v26, off, s[48:51], 0 offset:252 ; 4-byte Folded Reload
	;; [unrolled: 1-line block ×4, first 2 shown]
	v_fma_f64 v[8:9], v[22:23], v[8:9], -v[16:17]
	v_mov_b32_e32 v16, v19
	v_mad_u64_u32 v[16:17], s[6:7], s9, v21, v[16:17]
	global_store_dwordx4 v[14:15], v[2:5], off
	v_mov_b32_e32 v19, v16
	v_mul_f64 v[2:3], v[6:7], s[0:1]
	v_mul_f64 v[4:5], v[8:9], s[0:1]
	ds_read_b128 v[6:9], v20 offset:7680
	v_lshlrev_b64 v[16:17], 4, v[18:19]
	v_add_co_u32_e32 v16, vcc, v1, v16
	v_addc_co_u32_e32 v17, vcc, v0, v17, vcc
	s_waitcnt vmcnt(1) lgkmcnt(1)
	v_mul_f64 v[21:22], v[27:28], v[12:13]
	v_mul_f64 v[23:24], v[27:28], v[10:11]
	v_fma_f64 v[10:11], v[25:26], v[10:11], v[21:22]
	v_fma_f64 v[12:13], v[25:26], v[12:13], -v[23:24]
	buffer_load_dword v24, off, s[48:51], 0 offset:232 ; 4-byte Folded Reload
	buffer_load_dword v25, off, s[48:51], 0 offset:236 ; 4-byte Folded Reload
	buffer_load_dword v26, off, s[48:51], 0 offset:240 ; 4-byte Folded Reload
	buffer_load_dword v27, off, s[48:51], 0 offset:244 ; 4-byte Folded Reload
	v_mov_b32_e32 v23, 0xffff7600
	v_mad_u64_u32 v[14:15], s[6:7], s8, v23, v[14:15]
	s_mul_i32 s6, s9, 0xffff7600
	s_sub_i32 s6, s6, s8
	v_mul_f64 v[10:11], v[10:11], s[0:1]
	v_mul_f64 v[12:13], v[12:13], s[0:1]
	v_add_u32_e32 v15, s6, v15
	global_store_dwordx4 v[16:17], v[2:5], off
	ds_read_b128 v[2:5], v20 offset:12288
	v_mov_b32_e32 v23, s2
	global_store_dwordx4 v[14:15], v[10:13], off
	buffer_load_dword v10, off, s[48:51], 0 offset:184 ; 4-byte Folded Reload
	s_nop 0
	buffer_load_dword v11, off, s[48:51], 0 offset:188 ; 4-byte Folded Reload
	buffer_load_dword v12, off, s[48:51], 0 offset:192 ; 4-byte Folded Reload
	;; [unrolled: 1-line block ×3, first 2 shown]
	v_add_co_u32_e32 v14, vcc, s3, v14
	v_addc_co_u32_e32 v15, vcc, v15, v23, vcc
	s_waitcnt vmcnt(6) lgkmcnt(1)
	v_mul_f64 v[18:19], v[26:27], v[8:9]
	v_mul_f64 v[21:22], v[26:27], v[6:7]
	buffer_load_dword v26, off, s[48:51], 0 offset:508 ; 4-byte Folded Reload
	v_fma_f64 v[6:7], v[24:25], v[6:7], v[18:19]
	v_fma_f64 v[8:9], v[24:25], v[8:9], -v[21:22]
	s_waitcnt vmcnt(3)
	v_mov_b32_e32 v25, v11
	s_waitcnt vmcnt(1) lgkmcnt(0)
	v_mul_f64 v[16:17], v[12:13], v[4:5]
	v_mul_f64 v[18:19], v[12:13], v[2:3]
	v_mov_b32_e32 v24, v10
	ds_read_b128 v[10:13], v20 offset:16896
	buffer_load_dword v27, off, s[48:51], 0 offset:152 ; 4-byte Folded Reload
	buffer_load_dword v28, off, s[48:51], 0 offset:156 ; 4-byte Folded Reload
	;; [unrolled: 1-line block ×4, first 2 shown]
	v_mul_f64 v[6:7], v[6:7], s[0:1]
	v_mul_f64 v[8:9], v[8:9], s[0:1]
	v_fma_f64 v[2:3], v[24:25], v[2:3], v[16:17]
	v_fma_f64 v[4:5], v[24:25], v[4:5], -v[18:19]
	global_store_dwordx4 v[14:15], v[6:9], off
	ds_read_b128 v[6:9], v20 offset:21504
	v_mul_f64 v[2:3], v[2:3], s[0:1]
	v_mul_f64 v[4:5], v[4:5], s[0:1]
	s_waitcnt vmcnt(5)
	v_mad_u64_u32 v[21:22], s[6:7], s8, v26, 0
	v_mov_b32_e32 v16, v22
	s_waitcnt vmcnt(1) lgkmcnt(1)
	v_mul_f64 v[17:18], v[29:30], v[12:13]
	v_mul_f64 v[23:24], v[29:30], v[10:11]
	v_mad_u64_u32 v[25:26], s[6:7], s9, v26, v[16:17]
	v_fma_f64 v[12:13], v[27:28], v[12:13], -v[23:24]
	v_fma_f64 v[10:11], v[27:28], v[10:11], v[17:18]
	v_mov_b32_e32 v22, v25
	buffer_load_dword v23, off, s[48:51], 0 offset:120 ; 4-byte Folded Reload
	buffer_load_dword v24, off, s[48:51], 0 offset:124 ; 4-byte Folded Reload
	;; [unrolled: 1-line block ×4, first 2 shown]
	v_lshlrev_b64 v[21:22], 4, v[21:22]
	v_add_co_u32_e32 v16, vcc, v1, v21
	v_addc_co_u32_e32 v17, vcc, v0, v22, vcc
	global_store_dwordx4 v[16:17], v[2:5], off
	v_add_co_u32_e32 v14, vcc, s5, v14
	v_mul_f64 v[2:3], v[10:11], s[0:1]
	v_mul_f64 v[4:5], v[12:13], s[0:1]
	ds_read_b128 v[10:13], v20 offset:26112
	s_waitcnt vmcnt(1) lgkmcnt(1)
	v_mul_f64 v[18:19], v[25:26], v[8:9]
	v_mul_f64 v[21:22], v[25:26], v[6:7]
	v_fma_f64 v[6:7], v[23:24], v[6:7], v[18:19]
	v_fma_f64 v[8:9], v[23:24], v[8:9], -v[21:22]
	buffer_load_dword v22, off, s[48:51], 0 offset:104 ; 4-byte Folded Reload
	buffer_load_dword v23, off, s[48:51], 0 offset:108 ; 4-byte Folded Reload
	;; [unrolled: 1-line block ×4, first 2 shown]
	v_mov_b32_e32 v21, s4
	v_addc_co_u32_e32 v15, vcc, v15, v21, vcc
	global_store_dwordx4 v[14:15], v[2:5], off
	v_add_co_u32_e32 v14, vcc, s3, v14
	v_mul_f64 v[2:3], v[6:7], s[0:1]
	v_mul_f64 v[4:5], v[8:9], s[0:1]
	ds_read_b128 v[6:9], v20 offset:30720
	s_waitcnt vmcnt(1) lgkmcnt(1)
	v_mul_f64 v[16:17], v[24:25], v[12:13]
	v_mul_f64 v[18:19], v[24:25], v[10:11]
	v_fma_f64 v[10:11], v[22:23], v[10:11], v[16:17]
	v_mov_b32_e32 v16, s2
	v_addc_co_u32_e32 v15, vcc, v15, v16, vcc
	global_store_dwordx4 v[14:15], v[2:5], off
	v_fma_f64 v[12:13], v[22:23], v[12:13], -v[18:19]
	buffer_load_dword v21, off, s[48:51], 0 offset:168 ; 4-byte Folded Reload
	buffer_load_dword v22, off, s[48:51], 0 offset:172 ; 4-byte Folded Reload
	buffer_load_dword v23, off, s[48:51], 0 offset:176 ; 4-byte Folded Reload
	buffer_load_dword v24, off, s[48:51], 0 offset:180 ; 4-byte Folded Reload
	buffer_load_dword v18, off, s[48:51], 0 ; 4-byte Folded Reload
	v_mul_f64 v[2:3], v[10:11], s[0:1]
	v_add_co_u32_e32 v14, vcc, s3, v14
	v_addc_co_u32_e32 v15, vcc, v15, v16, vcc
	v_mul_f64 v[4:5], v[12:13], s[0:1]
	global_store_dwordx4 v[14:15], v[2:5], off
	s_waitcnt vmcnt(2) lgkmcnt(0)
	v_mul_f64 v[10:11], v[23:24], v[8:9]
	v_mul_f64 v[12:13], v[23:24], v[6:7]
	s_waitcnt vmcnt(1)
	v_mad_u64_u32 v[16:17], s[6:7], s8, v18, 0
	v_mov_b32_e32 v2, v17
	v_mad_u64_u32 v[17:18], s[6:7], s9, v18, v[2:3]
	v_fma_f64 v[10:11], v[21:22], v[6:7], v[10:11]
	v_fma_f64 v[12:13], v[21:22], v[8:9], -v[12:13]
	ds_read_b128 v[6:9], v20 offset:35328
	buffer_load_dword v23, off, s[48:51], 0 offset:136 ; 4-byte Folded Reload
	buffer_load_dword v24, off, s[48:51], 0 offset:140 ; 4-byte Folded Reload
	;; [unrolled: 1-line block ×4, first 2 shown]
	v_mul_f64 v[2:3], v[10:11], s[0:1]
	v_mul_f64 v[4:5], v[12:13], s[0:1]
	v_lshlrev_b64 v[10:11], 4, v[16:17]
	v_add_co_u32_e32 v10, vcc, v1, v10
	v_addc_co_u32_e32 v11, vcc, v0, v11, vcc
	v_add_co_u32_e32 v14, vcc, s5, v14
	global_store_dwordx4 v[10:11], v[2:5], off
	ds_read_b128 v[0:3], v20 offset:44544
	s_waitcnt vmcnt(1) lgkmcnt(1)
	v_mul_f64 v[18:19], v[25:26], v[8:9]
	v_mul_f64 v[21:22], v[25:26], v[6:7]
	v_fma_f64 v[12:13], v[23:24], v[6:7], v[18:19]
	v_fma_f64 v[16:17], v[23:24], v[8:9], -v[21:22]
	ds_read_b128 v[6:9], v20 offset:39936
	buffer_load_dword v20, off, s[48:51], 0 offset:52 ; 4-byte Folded Reload
	buffer_load_dword v21, off, s[48:51], 0 offset:56 ; 4-byte Folded Reload
	;; [unrolled: 1-line block ×8, first 2 shown]
	v_mul_f64 v[10:11], v[12:13], s[0:1]
	v_mul_f64 v[12:13], v[16:17], s[0:1]
	s_waitcnt vmcnt(4) lgkmcnt(0)
	v_mul_f64 v[4:5], v[22:23], v[8:9]
	v_mul_f64 v[18:19], v[22:23], v[6:7]
	v_mov_b32_e32 v23, v21
	v_mov_b32_e32 v22, v20
	s_waitcnt vmcnt(0)
	v_mul_f64 v[16:17], v[26:27], v[2:3]
	v_mul_f64 v[20:21], v[26:27], v[0:1]
	v_fma_f64 v[4:5], v[22:23], v[6:7], v[4:5]
	v_fma_f64 v[6:7], v[22:23], v[8:9], -v[18:19]
	v_mov_b32_e32 v8, s4
	v_addc_co_u32_e32 v15, vcc, v15, v8, vcc
	v_fma_f64 v[8:9], v[24:25], v[0:1], v[16:17]
	v_fma_f64 v[16:17], v[24:25], v[2:3], -v[20:21]
	global_store_dwordx4 v[14:15], v[10:13], off
	v_mul_f64 v[0:1], v[4:5], s[0:1]
	v_mul_f64 v[2:3], v[6:7], s[0:1]
	v_add_co_u32_e32 v10, vcc, s3, v14
	v_mov_b32_e32 v11, s2
	v_mul_f64 v[4:5], v[8:9], s[0:1]
	v_mul_f64 v[6:7], v[16:17], s[0:1]
	v_addc_co_u32_e32 v11, vcc, v15, v11, vcc
	global_store_dwordx4 v[10:11], v[0:3], off
	s_nop 0
	v_add_co_u32_e32 v0, vcc, s3, v10
	v_mov_b32_e32 v1, s2
	v_addc_co_u32_e32 v1, vcc, v11, v1, vcc
	global_store_dwordx4 v[0:1], v[4:7], off
.LBB0_2:
	s_endpgm
	.section	.rodata,"a",@progbits
	.p2align	6, 0x0
	.amdhsa_kernel bluestein_single_fwd_len2880_dim1_dp_op_CI_CI
		.amdhsa_group_segment_fixed_size 46080
		.amdhsa_private_segment_fixed_size 1672
		.amdhsa_kernarg_size 104
		.amdhsa_user_sgpr_count 6
		.amdhsa_user_sgpr_private_segment_buffer 1
		.amdhsa_user_sgpr_dispatch_ptr 0
		.amdhsa_user_sgpr_queue_ptr 0
		.amdhsa_user_sgpr_kernarg_segment_ptr 1
		.amdhsa_user_sgpr_dispatch_id 0
		.amdhsa_user_sgpr_flat_scratch_init 0
		.amdhsa_user_sgpr_private_segment_size 0
		.amdhsa_uses_dynamic_stack 0
		.amdhsa_system_sgpr_private_segment_wavefront_offset 1
		.amdhsa_system_sgpr_workgroup_id_x 1
		.amdhsa_system_sgpr_workgroup_id_y 0
		.amdhsa_system_sgpr_workgroup_id_z 0
		.amdhsa_system_sgpr_workgroup_info 0
		.amdhsa_system_vgpr_workitem_id 0
		.amdhsa_next_free_vgpr 256
		.amdhsa_next_free_sgpr 52
		.amdhsa_reserve_vcc 1
		.amdhsa_reserve_flat_scratch 0
		.amdhsa_float_round_mode_32 0
		.amdhsa_float_round_mode_16_64 0
		.amdhsa_float_denorm_mode_32 3
		.amdhsa_float_denorm_mode_16_64 3
		.amdhsa_dx10_clamp 1
		.amdhsa_ieee_mode 1
		.amdhsa_fp16_overflow 0
		.amdhsa_exception_fp_ieee_invalid_op 0
		.amdhsa_exception_fp_denorm_src 0
		.amdhsa_exception_fp_ieee_div_zero 0
		.amdhsa_exception_fp_ieee_overflow 0
		.amdhsa_exception_fp_ieee_underflow 0
		.amdhsa_exception_fp_ieee_inexact 0
		.amdhsa_exception_int_div_zero 0
	.end_amdhsa_kernel
	.text
.Lfunc_end0:
	.size	bluestein_single_fwd_len2880_dim1_dp_op_CI_CI, .Lfunc_end0-bluestein_single_fwd_len2880_dim1_dp_op_CI_CI
                                        ; -- End function
	.section	.AMDGPU.csdata,"",@progbits
; Kernel info:
; codeLenInByte = 48168
; NumSgprs: 56
; NumVgprs: 256
; ScratchSize: 1672
; MemoryBound: 0
; FloatMode: 240
; IeeeMode: 1
; LDSByteSize: 46080 bytes/workgroup (compile time only)
; SGPRBlocks: 6
; VGPRBlocks: 63
; NumSGPRsForWavesPerEU: 56
; NumVGPRsForWavesPerEU: 256
; Occupancy: 1
; WaveLimiterHint : 1
; COMPUTE_PGM_RSRC2:SCRATCH_EN: 1
; COMPUTE_PGM_RSRC2:USER_SGPR: 6
; COMPUTE_PGM_RSRC2:TRAP_HANDLER: 0
; COMPUTE_PGM_RSRC2:TGID_X_EN: 1
; COMPUTE_PGM_RSRC2:TGID_Y_EN: 0
; COMPUTE_PGM_RSRC2:TGID_Z_EN: 0
; COMPUTE_PGM_RSRC2:TIDIG_COMP_CNT: 0
	.type	__hip_cuid_67ee51dd8bc3c1c9,@object ; @__hip_cuid_67ee51dd8bc3c1c9
	.section	.bss,"aw",@nobits
	.globl	__hip_cuid_67ee51dd8bc3c1c9
__hip_cuid_67ee51dd8bc3c1c9:
	.byte	0                               ; 0x0
	.size	__hip_cuid_67ee51dd8bc3c1c9, 1

	.ident	"AMD clang version 19.0.0git (https://github.com/RadeonOpenCompute/llvm-project roc-6.4.0 25133 c7fe45cf4b819c5991fe208aaa96edf142730f1d)"
	.section	".note.GNU-stack","",@progbits
	.addrsig
	.addrsig_sym __hip_cuid_67ee51dd8bc3c1c9
	.amdgpu_metadata
---
amdhsa.kernels:
  - .args:
      - .actual_access:  read_only
        .address_space:  global
        .offset:         0
        .size:           8
        .value_kind:     global_buffer
      - .actual_access:  read_only
        .address_space:  global
        .offset:         8
        .size:           8
        .value_kind:     global_buffer
      - .actual_access:  read_only
        .address_space:  global
        .offset:         16
        .size:           8
        .value_kind:     global_buffer
      - .actual_access:  read_only
        .address_space:  global
        .offset:         24
        .size:           8
        .value_kind:     global_buffer
      - .actual_access:  read_only
        .address_space:  global
        .offset:         32
        .size:           8
        .value_kind:     global_buffer
      - .offset:         40
        .size:           8
        .value_kind:     by_value
      - .address_space:  global
        .offset:         48
        .size:           8
        .value_kind:     global_buffer
      - .address_space:  global
        .offset:         56
        .size:           8
        .value_kind:     global_buffer
      - .address_space:  global
        .offset:         64
        .size:           8
        .value_kind:     global_buffer
      - .address_space:  global
        .offset:         72
        .size:           8
        .value_kind:     global_buffer
      - .offset:         80
        .size:           4
        .value_kind:     by_value
      - .address_space:  global
        .offset:         88
        .size:           8
        .value_kind:     global_buffer
      - .address_space:  global
        .offset:         96
        .size:           8
        .value_kind:     global_buffer
    .group_segment_fixed_size: 46080
    .kernarg_segment_align: 8
    .kernarg_segment_size: 104
    .language:       OpenCL C
    .language_version:
      - 2
      - 0
    .max_flat_workgroup_size: 96
    .name:           bluestein_single_fwd_len2880_dim1_dp_op_CI_CI
    .private_segment_fixed_size: 1672
    .sgpr_count:     56
    .sgpr_spill_count: 0
    .symbol:         bluestein_single_fwd_len2880_dim1_dp_op_CI_CI.kd
    .uniform_work_group_size: 1
    .uses_dynamic_stack: false
    .vgpr_count:     256
    .vgpr_spill_count: 417
    .wavefront_size: 64
amdhsa.target:   amdgcn-amd-amdhsa--gfx906
amdhsa.version:
  - 1
  - 2
...

	.end_amdgpu_metadata
